;; amdgpu-corpus repo=ROCm/rocFFT kind=compiled arch=gfx1030 opt=O3
	.text
	.amdgcn_target "amdgcn-amd-amdhsa--gfx1030"
	.amdhsa_code_object_version 6
	.protected	fft_rtc_back_len1078_factors_2_11_7_7_wgs_231_tpt_77_halfLds_dp_op_CI_CI_unitstride_sbrr_R2C_dirReg ; -- Begin function fft_rtc_back_len1078_factors_2_11_7_7_wgs_231_tpt_77_halfLds_dp_op_CI_CI_unitstride_sbrr_R2C_dirReg
	.globl	fft_rtc_back_len1078_factors_2_11_7_7_wgs_231_tpt_77_halfLds_dp_op_CI_CI_unitstride_sbrr_R2C_dirReg
	.p2align	8
	.type	fft_rtc_back_len1078_factors_2_11_7_7_wgs_231_tpt_77_halfLds_dp_op_CI_CI_unitstride_sbrr_R2C_dirReg,@function
fft_rtc_back_len1078_factors_2_11_7_7_wgs_231_tpt_77_halfLds_dp_op_CI_CI_unitstride_sbrr_R2C_dirReg: ; @fft_rtc_back_len1078_factors_2_11_7_7_wgs_231_tpt_77_halfLds_dp_op_CI_CI_unitstride_sbrr_R2C_dirReg
; %bb.0:
	s_load_dwordx4 s[12:15], s[4:5], 0x0
	v_mul_u32_u24_e32 v1, 0x354, v0
	s_clause 0x1
	s_load_dwordx4 s[8:11], s[4:5], 0x58
	s_load_dwordx4 s[16:19], s[4:5], 0x18
	v_mov_b32_e32 v5, 0
	v_lshrrev_b32_e32 v3, 16, v1
	v_mov_b32_e32 v1, 0
	v_mov_b32_e32 v2, 0
	v_mad_u64_u32 v[3:4], null, s6, 3, v[3:4]
	v_mov_b32_e32 v4, v5
	v_mov_b32_e32 v89, v2
	;; [unrolled: 1-line block ×5, first 2 shown]
	s_waitcnt lgkmcnt(0)
	v_cmp_lt_u64_e64 s0, s[14:15], 2
	s_and_b32 vcc_lo, exec_lo, s0
	s_cbranch_vccnz .LBB0_8
; %bb.1:
	s_load_dwordx2 s[0:1], s[4:5], 0x10
	v_mov_b32_e32 v1, 0
	v_mov_b32_e32 v2, 0
	s_add_u32 s2, s18, 8
	v_mov_b32_e32 v8, v4
	s_addc_u32 s3, s19, 0
	v_mov_b32_e32 v7, v3
	v_mov_b32_e32 v89, v2
	s_add_u32 s6, s16, 8
	v_mov_b32_e32 v88, v1
	s_addc_u32 s7, s17, 0
	s_mov_b64 s[22:23], 1
	s_waitcnt lgkmcnt(0)
	s_add_u32 s20, s0, 8
	s_addc_u32 s21, s1, 0
.LBB0_2:                                ; =>This Inner Loop Header: Depth=1
	s_load_dwordx2 s[24:25], s[20:21], 0x0
                                        ; implicit-def: $vgpr92_vgpr93
	s_mov_b32 s0, exec_lo
	s_waitcnt lgkmcnt(0)
	v_or_b32_e32 v6, s25, v8
	v_cmpx_ne_u64_e32 0, v[5:6]
	s_xor_b32 s1, exec_lo, s0
	s_cbranch_execz .LBB0_4
; %bb.3:                                ;   in Loop: Header=BB0_2 Depth=1
	v_cvt_f32_u32_e32 v4, s24
	v_cvt_f32_u32_e32 v6, s25
	s_sub_u32 s0, 0, s24
	s_subb_u32 s26, 0, s25
	v_fmac_f32_e32 v4, 0x4f800000, v6
	v_rcp_f32_e32 v4, v4
	v_mul_f32_e32 v4, 0x5f7ffffc, v4
	v_mul_f32_e32 v6, 0x2f800000, v4
	v_trunc_f32_e32 v6, v6
	v_fmac_f32_e32 v4, 0xcf800000, v6
	v_cvt_u32_f32_e32 v6, v6
	v_cvt_u32_f32_e32 v4, v4
	v_mul_lo_u32 v9, s0, v6
	v_mul_hi_u32 v10, s0, v4
	v_mul_lo_u32 v11, s26, v4
	v_add_nc_u32_e32 v9, v10, v9
	v_mul_lo_u32 v10, s0, v4
	v_add_nc_u32_e32 v9, v9, v11
	v_mul_hi_u32 v11, v4, v10
	v_mul_lo_u32 v12, v4, v9
	v_mul_hi_u32 v13, v4, v9
	v_mul_hi_u32 v14, v6, v10
	v_mul_lo_u32 v10, v6, v10
	v_mul_hi_u32 v15, v6, v9
	v_mul_lo_u32 v9, v6, v9
	v_add_co_u32 v11, vcc_lo, v11, v12
	v_add_co_ci_u32_e32 v12, vcc_lo, 0, v13, vcc_lo
	v_add_co_u32 v10, vcc_lo, v11, v10
	v_add_co_ci_u32_e32 v10, vcc_lo, v12, v14, vcc_lo
	v_add_co_ci_u32_e32 v11, vcc_lo, 0, v15, vcc_lo
	v_add_co_u32 v9, vcc_lo, v10, v9
	v_add_co_ci_u32_e32 v10, vcc_lo, 0, v11, vcc_lo
	v_add_co_u32 v4, vcc_lo, v4, v9
	v_add_co_ci_u32_e32 v6, vcc_lo, v6, v10, vcc_lo
	v_mul_hi_u32 v9, s0, v4
	v_mul_lo_u32 v11, s26, v4
	v_mul_lo_u32 v10, s0, v6
	v_add_nc_u32_e32 v9, v9, v10
	v_mul_lo_u32 v10, s0, v4
	v_add_nc_u32_e32 v9, v9, v11
	v_mul_hi_u32 v11, v4, v10
	v_mul_lo_u32 v12, v4, v9
	v_mul_hi_u32 v13, v4, v9
	v_mul_hi_u32 v14, v6, v10
	v_mul_lo_u32 v10, v6, v10
	v_mul_hi_u32 v15, v6, v9
	v_mul_lo_u32 v9, v6, v9
	v_add_co_u32 v11, vcc_lo, v11, v12
	v_add_co_ci_u32_e32 v12, vcc_lo, 0, v13, vcc_lo
	v_add_co_u32 v10, vcc_lo, v11, v10
	v_add_co_ci_u32_e32 v10, vcc_lo, v12, v14, vcc_lo
	v_add_co_ci_u32_e32 v11, vcc_lo, 0, v15, vcc_lo
	v_add_co_u32 v9, vcc_lo, v10, v9
	v_add_co_ci_u32_e32 v10, vcc_lo, 0, v11, vcc_lo
	v_add_co_u32 v4, vcc_lo, v4, v9
	v_add_co_ci_u32_e32 v6, vcc_lo, v6, v10, vcc_lo
	v_mul_hi_u32 v15, v7, v4
	v_mad_u64_u32 v[11:12], null, v8, v4, 0
	v_mad_u64_u32 v[9:10], null, v7, v6, 0
	;; [unrolled: 1-line block ×3, first 2 shown]
	v_add_co_u32 v4, vcc_lo, v15, v9
	v_add_co_ci_u32_e32 v6, vcc_lo, 0, v10, vcc_lo
	v_add_co_u32 v4, vcc_lo, v4, v11
	v_add_co_ci_u32_e32 v4, vcc_lo, v6, v12, vcc_lo
	v_add_co_ci_u32_e32 v6, vcc_lo, 0, v14, vcc_lo
	v_add_co_u32 v4, vcc_lo, v4, v13
	v_add_co_ci_u32_e32 v6, vcc_lo, 0, v6, vcc_lo
	v_mul_lo_u32 v11, s25, v4
	v_mad_u64_u32 v[9:10], null, s24, v4, 0
	v_mul_lo_u32 v12, s24, v6
	v_sub_co_u32 v9, vcc_lo, v7, v9
	v_add3_u32 v10, v10, v12, v11
	v_sub_nc_u32_e32 v11, v8, v10
	v_subrev_co_ci_u32_e64 v11, s0, s25, v11, vcc_lo
	v_add_co_u32 v12, s0, v4, 2
	v_add_co_ci_u32_e64 v13, s0, 0, v6, s0
	v_sub_co_u32 v14, s0, v9, s24
	v_sub_co_ci_u32_e32 v10, vcc_lo, v8, v10, vcc_lo
	v_subrev_co_ci_u32_e64 v11, s0, 0, v11, s0
	v_cmp_le_u32_e32 vcc_lo, s24, v14
	v_cmp_eq_u32_e64 s0, s25, v10
	v_cndmask_b32_e64 v14, 0, -1, vcc_lo
	v_cmp_le_u32_e32 vcc_lo, s25, v11
	v_cndmask_b32_e64 v15, 0, -1, vcc_lo
	v_cmp_le_u32_e32 vcc_lo, s24, v9
	;; [unrolled: 2-line block ×3, first 2 shown]
	v_cndmask_b32_e64 v16, 0, -1, vcc_lo
	v_cmp_eq_u32_e32 vcc_lo, s25, v11
	v_cndmask_b32_e64 v9, v16, v9, s0
	v_cndmask_b32_e32 v11, v15, v14, vcc_lo
	v_add_co_u32 v14, vcc_lo, v4, 1
	v_add_co_ci_u32_e32 v15, vcc_lo, 0, v6, vcc_lo
	v_cmp_ne_u32_e32 vcc_lo, 0, v11
	v_cndmask_b32_e32 v10, v15, v13, vcc_lo
	v_cndmask_b32_e32 v11, v14, v12, vcc_lo
	v_cmp_ne_u32_e32 vcc_lo, 0, v9
	v_cndmask_b32_e32 v93, v6, v10, vcc_lo
	v_cndmask_b32_e32 v92, v4, v11, vcc_lo
.LBB0_4:                                ;   in Loop: Header=BB0_2 Depth=1
	s_andn2_saveexec_b32 s0, s1
	s_cbranch_execz .LBB0_6
; %bb.5:                                ;   in Loop: Header=BB0_2 Depth=1
	v_cvt_f32_u32_e32 v4, s24
	s_sub_i32 s1, 0, s24
	v_mov_b32_e32 v93, v5
	v_rcp_iflag_f32_e32 v4, v4
	v_mul_f32_e32 v4, 0x4f7ffffe, v4
	v_cvt_u32_f32_e32 v4, v4
	v_mul_lo_u32 v6, s1, v4
	v_mul_hi_u32 v6, v4, v6
	v_add_nc_u32_e32 v4, v4, v6
	v_mul_hi_u32 v4, v7, v4
	v_mul_lo_u32 v6, v4, s24
	v_add_nc_u32_e32 v9, 1, v4
	v_sub_nc_u32_e32 v6, v7, v6
	v_subrev_nc_u32_e32 v10, s24, v6
	v_cmp_le_u32_e32 vcc_lo, s24, v6
	v_cndmask_b32_e32 v6, v6, v10, vcc_lo
	v_cndmask_b32_e32 v4, v4, v9, vcc_lo
	v_cmp_le_u32_e32 vcc_lo, s24, v6
	v_add_nc_u32_e32 v9, 1, v4
	v_cndmask_b32_e32 v92, v4, v9, vcc_lo
.LBB0_6:                                ;   in Loop: Header=BB0_2 Depth=1
	s_or_b32 exec_lo, exec_lo, s0
	v_mul_lo_u32 v4, v93, s24
	v_mul_lo_u32 v6, v92, s25
	s_load_dwordx2 s[0:1], s[6:7], 0x0
	v_mad_u64_u32 v[9:10], null, v92, s24, 0
	s_load_dwordx2 s[24:25], s[2:3], 0x0
	s_add_u32 s22, s22, 1
	s_addc_u32 s23, s23, 0
	s_add_u32 s2, s2, 8
	s_addc_u32 s3, s3, 0
	s_add_u32 s6, s6, 8
	v_add3_u32 v4, v10, v6, v4
	v_sub_co_u32 v6, vcc_lo, v7, v9
	s_addc_u32 s7, s7, 0
	s_add_u32 s20, s20, 8
	v_sub_co_ci_u32_e32 v4, vcc_lo, v8, v4, vcc_lo
	s_addc_u32 s21, s21, 0
	s_waitcnt lgkmcnt(0)
	v_mul_lo_u32 v7, s0, v4
	v_mul_lo_u32 v8, s1, v6
	v_mad_u64_u32 v[1:2], null, s0, v6, v[1:2]
	v_mul_lo_u32 v4, s24, v4
	v_mul_lo_u32 v9, s25, v6
	v_mad_u64_u32 v[88:89], null, s24, v6, v[88:89]
	v_cmp_ge_u64_e64 s0, s[22:23], s[14:15]
	v_add3_u32 v2, v8, v2, v7
	v_add3_u32 v89, v9, v89, v4
	s_and_b32 vcc_lo, exec_lo, s0
	s_cbranch_vccnz .LBB0_8
; %bb.7:                                ;   in Loop: Header=BB0_2 Depth=1
	v_mov_b32_e32 v7, v92
	v_mov_b32_e32 v8, v93
	s_branch .LBB0_2
.LBB0_8:
	s_load_dwordx2 s[0:1], s[4:5], 0x28
	v_mul_hi_u32 v4, 0xaaaaaaab, v3
	s_lshl_b64 s[4:5], s[14:15], 3
                                        ; implicit-def: $vgpr90
                                        ; implicit-def: $vgpr94
                                        ; implicit-def: $vgpr100
                                        ; implicit-def: $vgpr98
                                        ; implicit-def: $vgpr96
	s_add_u32 s2, s18, s4
	s_addc_u32 s3, s19, s5
	v_lshrrev_b32_e32 v4, 1, v4
	v_lshl_add_u32 v5, v4, 1, v4
	v_mul_hi_u32 v4, 0x3531ded, v0
	v_sub_nc_u32_e32 v3, v3, v5
	s_waitcnt lgkmcnt(0)
	v_cmp_gt_u64_e32 vcc_lo, s[0:1], v[92:93]
	v_cmp_le_u64_e64 s0, s[0:1], v[92:93]
	s_and_saveexec_b32 s1, s0
	s_xor_b32 s0, exec_lo, s1
; %bb.9:
	v_mul_u32_u24_e32 v1, 0x4d, v4
                                        ; implicit-def: $vgpr4
	v_sub_nc_u32_e32 v90, v0, v1
                                        ; implicit-def: $vgpr0
                                        ; implicit-def: $vgpr1_vgpr2
	v_add_nc_u32_e32 v94, 0x4d, v90
	v_add_nc_u32_e32 v100, 0x9a, v90
	v_add_nc_u32_e32 v98, 0x134, v90
	v_add_nc_u32_e32 v96, 0x1ce, v90
; %bb.10:
	s_or_saveexec_b32 s1, s0
	v_mul_u32_u24_e32 v3, 0x437, v3
	v_lshlrev_b32_e32 v97, 4, v3
	s_xor_b32 exec_lo, exec_lo, s1
	s_cbranch_execz .LBB0_12
; %bb.11:
	s_add_u32 s4, s16, s4
	s_addc_u32 s5, s17, s5
	v_lshlrev_b64 v[1:2], 4, v[1:2]
	s_load_dwordx2 s[4:5], s[4:5], 0x0
	s_waitcnt lgkmcnt(0)
	v_mul_lo_u32 v3, s5, v92
	v_mul_lo_u32 v7, s4, v93
	v_mad_u64_u32 v[5:6], null, s4, v92, 0
	v_add3_u32 v6, v6, v7, v3
	v_mul_u32_u24_e32 v7, 0x4d, v4
	v_lshlrev_b64 v[3:4], 4, v[5:6]
	v_sub_nc_u32_e32 v90, v0, v7
	v_lshlrev_b32_e32 v56, 4, v90
	v_add_co_u32 v0, s0, s8, v3
	v_add_co_ci_u32_e64 v3, s0, s9, v4, s0
	v_add_nc_u32_e32 v94, 0x4d, v90
	v_add_co_u32 v0, s0, v0, v1
	v_add_co_ci_u32_e64 v1, s0, v3, v2, s0
	v_add_nc_u32_e32 v100, 0x9a, v90
	v_add_co_u32 v8, s0, v0, v56
	v_add_co_ci_u32_e64 v9, s0, 0, v1, s0
	s_clause 0x1
	global_load_dwordx4 v[0:3], v[8:9], off
	global_load_dwordx4 v[4:7], v[8:9], off offset:1232
	v_add_co_u32 v12, s0, 0x800, v8
	v_add_co_ci_u32_e64 v13, s0, 0, v9, s0
	v_add_co_u32 v16, s0, 0x1000, v8
	v_add_co_ci_u32_e64 v17, s0, 0, v9, s0
	;; [unrolled: 2-line block ×7, first 2 shown]
	s_clause 0xb
	global_load_dwordx4 v[8:11], v[12:13], off offset:416
	global_load_dwordx4 v[12:15], v[12:13], off offset:1648
	;; [unrolled: 1-line block ×12, first 2 shown]
	v_add3_u32 v56, 0, v97, v56
	v_add_nc_u32_e32 v98, 0x134, v90
	v_add_nc_u32_e32 v96, 0x1ce, v90
	s_waitcnt vmcnt(13)
	ds_write_b128 v56, v[0:3]
	s_waitcnt vmcnt(12)
	ds_write_b128 v56, v[4:7] offset:1232
	s_waitcnt vmcnt(11)
	ds_write_b128 v56, v[8:11] offset:2464
	;; [unrolled: 2-line block ×13, first 2 shown]
.LBB0_12:
	s_or_b32 exec_lo, exec_lo, s1
	v_lshlrev_b32_e32 v91, 4, v90
	v_add_nc_u32_e32 v151, 0, v97
	s_load_dwordx2 s[2:3], s[2:3], 0x0
	s_waitcnt lgkmcnt(0)
	s_barrier
	v_add3_u32 v95, 0, v91, v97
	v_add_nc_u32_e32 v152, v151, v91
	buffer_gl0_inv
	v_cmp_gt_u32_e64 s0, 21, v90
	v_lshlrev_b32_e32 v99, 4, v94
	ds_read_b128 v[0:3], v95 offset:8624
	ds_read_b128 v[8:11], v152
	ds_read_b128 v[12:15], v95 offset:1232
	ds_read_b128 v[4:7], v95 offset:9856
	;; [unrolled: 1-line block ×12, first 2 shown]
	s_waitcnt lgkmcnt(0)
	s_barrier
	buffer_gl0_inv
	v_add_f64 v[56:57], v[8:9], -v[0:1]
	v_add_f64 v[58:59], v[10:11], -v[2:3]
	;; [unrolled: 1-line block ×14, first 2 shown]
	v_lshl_add_u32 v52, v96, 5, v151
	v_fma_f64 v[44:45], v[8:9], 2.0, -v[56:57]
	v_fma_f64 v[46:47], v[10:11], 2.0, -v[58:59]
	;; [unrolled: 1-line block ×14, first 2 shown]
	v_lshl_add_u32 v48, v90, 5, v151
	v_lshl_add_u32 v49, v94, 5, v151
	;; [unrolled: 1-line block ×4, first 2 shown]
	ds_write_b128 v48, v[56:59] offset:16
	ds_write_b128 v49, v[60:63] offset:16
	ds_write_b128 v50, v[16:19] offset:16
	ds_write_b128 v48, v[28:31] offset:7408
	ds_write_b128 v51, v[32:35] offset:16
	ds_write_b128 v48, v[0:3] offset:12336
	ds_write_b128 v52, v[4:7] offset:16
	ds_write_b128 v48, v[44:47]
	ds_write_b128 v49, v[12:15]
	;; [unrolled: 1-line block ×3, first 2 shown]
	ds_write_b128 v48, v[24:27] offset:7392
	ds_write_b128 v51, v[36:39]
	ds_write_b128 v48, v[40:43] offset:12320
	ds_write_b128 v52, v[8:11]
	s_waitcnt lgkmcnt(0)
	s_barrier
	buffer_gl0_inv
	ds_read_b128 v[44:47], v152
	ds_read_b128 v[84:87], v95 offset:1568
	ds_read_b128 v[80:83], v95 offset:3136
	ds_read_b128 v[76:79], v95 offset:4704
	ds_read_b128 v[72:75], v95 offset:6272
	ds_read_b128 v[68:71], v95 offset:7840
	ds_read_b128 v[64:67], v95 offset:9408
	ds_read_b128 v[56:59], v95 offset:10976
	ds_read_b128 v[60:63], v95 offset:12544
	ds_read_b128 v[48:51], v95 offset:14112
	ds_read_b128 v[52:55], v95 offset:15680
                                        ; implicit-def: $vgpr42_vgpr43
                                        ; implicit-def: $vgpr38_vgpr39
                                        ; implicit-def: $vgpr34_vgpr35
                                        ; implicit-def: $vgpr30_vgpr31
                                        ; implicit-def: $vgpr26_vgpr27
                                        ; implicit-def: $vgpr22_vgpr23
                                        ; implicit-def: $vgpr18_vgpr19
                                        ; implicit-def: $vgpr14_vgpr15
	s_and_saveexec_b32 s1, s0
	s_cbranch_execz .LBB0_14
; %bb.13:
	v_add3_u32 v0, 0, v99, v97
	ds_read_b128 v[8:11], v95 offset:2800
	ds_read_b128 v[4:7], v95 offset:4368
	;; [unrolled: 1-line block ×4, first 2 shown]
	ds_read_b128 v[0:3], v0
	ds_read_b128 v[20:23], v95 offset:9072
	ds_read_b128 v[24:27], v95 offset:10640
	;; [unrolled: 1-line block ×6, first 2 shown]
.LBB0_14:
	s_or_b32 exec_lo, exec_lo, s1
	v_and_b32_e32 v153, 1, v90
	s_mov_b32 s20, 0xf8bb580b
	s_mov_b32 s22, 0x8eee2c13
	;; [unrolled: 1-line block ×4, first 2 shown]
	v_mul_u32_u24_e32 v101, 10, v153
	s_mov_b32 s26, 0xfd768dbf
	s_mov_b32 s21, 0xbfe14ced
	;; [unrolled: 1-line block ×4, first 2 shown]
	v_lshlrev_b32_e32 v113, 4, v101
	s_mov_b32 s25, 0xbfe82f19
	s_mov_b32 s27, 0xbfd207e7
	;; [unrolled: 1-line block ×4, first 2 shown]
	s_clause 0x1
	global_load_dwordx4 v[101:104], v113, s[12:13]
	global_load_dwordx4 v[105:108], v113, s[12:13] offset:16
	s_mov_b32 s4, 0x640f44db
	s_mov_b32 s16, 0x7f775887
	;; [unrolled: 1-line block ×18, first 2 shown]
	s_waitcnt vmcnt(1) lgkmcnt(9)
	v_mul_f64 v[109:110], v[86:87], v[103:104]
	v_fma_f64 v[109:110], v[84:85], v[101:102], v[109:110]
	v_mul_f64 v[84:85], v[84:85], v[103:104]
	v_fma_f64 v[111:112], v[86:87], v[101:102], -v[84:85]
	s_waitcnt vmcnt(0) lgkmcnt(8)
	v_mul_f64 v[84:85], v[82:83], v[107:108]
	v_mul_f64 v[86:87], v[80:81], v[107:108]
	v_fma_f64 v[80:81], v[80:81], v[105:106], v[84:85]
	v_fma_f64 v[82:83], v[82:83], v[105:106], -v[86:87]
	s_clause 0x1
	global_load_dwordx4 v[101:104], v113, s[12:13] offset:32
	global_load_dwordx4 v[105:108], v113, s[12:13] offset:48
	s_waitcnt vmcnt(1) lgkmcnt(7)
	v_mul_f64 v[84:85], v[78:79], v[103:104]
	s_waitcnt vmcnt(0) lgkmcnt(6)
	v_mul_f64 v[86:87], v[72:73], v[107:108]
	v_fma_f64 v[84:85], v[76:77], v[101:102], v[84:85]
	v_mul_f64 v[76:77], v[76:77], v[103:104]
	v_fma_f64 v[76:77], v[78:79], v[101:102], -v[76:77]
	v_mul_f64 v[78:79], v[74:75], v[107:108]
	v_fma_f64 v[74:75], v[74:75], v[105:106], -v[86:87]
	v_fma_f64 v[72:73], v[72:73], v[105:106], v[78:79]
	s_clause 0x1
	global_load_dwordx4 v[101:104], v113, s[12:13] offset:64
	global_load_dwordx4 v[105:108], v113, s[12:13] offset:80
	s_waitcnt vmcnt(1) lgkmcnt(5)
	v_mul_f64 v[78:79], v[70:71], v[103:104]
	s_waitcnt vmcnt(0) lgkmcnt(4)
	v_mul_f64 v[86:87], v[64:65], v[107:108]
	v_fma_f64 v[78:79], v[68:69], v[101:102], v[78:79]
	v_mul_f64 v[68:69], v[68:69], v[103:104]
	v_fma_f64 v[86:87], v[66:67], v[105:106], -v[86:87]
	v_fma_f64 v[68:69], v[70:71], v[101:102], -v[68:69]
	v_mul_f64 v[70:71], v[66:67], v[107:108]
	v_add_f64 v[182:183], v[68:69], -v[86:87]
	v_fma_f64 v[70:71], v[64:65], v[105:106], v[70:71]
	s_clause 0x1
	global_load_dwordx4 v[101:104], v113, s[12:13] offset:96
	global_load_dwordx4 v[105:108], v113, s[12:13] offset:112
	v_add_f64 v[188:189], v[68:69], v[86:87]
	v_mul_f64 v[186:187], v[182:183], s[26:27]
	v_add_f64 v[184:185], v[78:79], v[70:71]
	v_add_f64 v[190:191], v[78:79], -v[70:71]
	v_mul_f64 v[192:193], v[188:189], s[14:15]
	v_mul_f64 v[202:203], v[182:183], s[34:35]
	;; [unrolled: 1-line block ×5, first 2 shown]
	s_waitcnt vmcnt(1) lgkmcnt(3)
	v_mul_f64 v[64:65], v[58:59], v[103:104]
	v_fma_f64 v[64:65], v[56:57], v[101:102], v[64:65]
	v_mul_f64 v[56:57], v[56:57], v[103:104]
	v_add_f64 v[172:173], v[72:73], v[64:65]
	v_fma_f64 v[66:67], v[58:59], v[101:102], -v[56:57]
	s_waitcnt vmcnt(0) lgkmcnt(2)
	v_mul_f64 v[56:57], v[62:63], v[107:108]
	v_mul_f64 v[58:59], v[60:61], v[107:108]
	v_add_f64 v[178:179], v[72:73], -v[64:65]
	v_add_f64 v[170:171], v[74:75], -v[66:67]
	v_fma_f64 v[56:57], v[60:61], v[105:106], v[56:57]
	v_fma_f64 v[58:59], v[62:63], v[105:106], -v[58:59]
	s_clause 0x1
	global_load_dwordx4 v[60:63], v113, s[12:13] offset:144
	global_load_dwordx4 v[101:104], v113, s[12:13] offset:128
	v_add_f64 v[176:177], v[74:75], v[66:67]
	s_waitcnt vmcnt(0) lgkmcnt(0)
	s_barrier
	buffer_gl0_inv
	v_mul_f64 v[174:175], v[170:171], s[24:25]
	v_mul_f64 v[198:199], v[170:171], s[36:37]
	v_add_f64 v[166:167], v[76:77], -v[58:59]
	v_add_f64 v[168:169], v[76:77], v[58:59]
	v_mul_f64 v[180:181], v[176:177], s[16:17]
	v_mul_f64 v[200:201], v[176:177], s[4:5]
	v_mul_f64 v[216:217], v[170:171], s[26:27]
	v_mul_f64 v[218:219], v[176:177], s[14:15]
	v_mul_f64 v[194:195], v[166:167], s[30:31]
	v_mul_f64 v[196:197], v[168:169], s[14:15]
	v_mul_f64 v[212:213], v[166:167], s[20:21]
	v_mul_f64 v[214:215], v[168:169], s[8:9]
	v_mul_f64 v[105:106], v[52:53], v[62:63]
	v_mul_f64 v[62:63], v[54:55], v[62:63]
	v_fma_f64 v[54:55], v[54:55], v[60:61], -v[105:106]
	v_fma_f64 v[52:53], v[52:53], v[60:61], v[62:63]
	v_mul_f64 v[60:61], v[50:51], v[103:104]
	v_mul_f64 v[62:63], v[48:49], v[103:104]
	v_add_f64 v[103:104], v[111:112], -v[54:55]
	v_add_f64 v[131:132], v[109:110], -v[52:53]
	v_fma_f64 v[48:49], v[48:49], v[101:102], v[60:61]
	v_fma_f64 v[50:51], v[50:51], v[101:102], -v[62:63]
	v_add_f64 v[60:61], v[109:110], v[52:53]
	v_mul_f64 v[62:63], v[103:104], s[20:21]
	v_mul_f64 v[101:102], v[103:104], s[22:23]
	;; [unrolled: 1-line block ×5, first 2 shown]
	v_fma_f64 v[113:114], v[60:61], s[8:9], v[62:63]
	v_fma_f64 v[62:63], v[60:61], s[8:9], -v[62:63]
	v_fma_f64 v[115:116], v[60:61], s[6:7], v[101:102]
	v_fma_f64 v[101:102], v[60:61], s[6:7], -v[101:102]
	;; [unrolled: 2-line block ×5, first 2 shown]
	v_add_f64 v[60:61], v[111:112], v[54:55]
	v_add_f64 v[62:63], v[44:45], v[62:63]
	;; [unrolled: 1-line block ×8, first 2 shown]
	v_add_f64 v[125:126], v[82:83], -v[50:51]
	v_mul_f64 v[103:104], v[60:61], s[8:9]
	v_mul_f64 v[105:106], v[60:61], s[6:7]
	;; [unrolled: 1-line block ×5, first 2 shown]
	v_add_f64 v[115:116], v[44:45], v[129:130]
	v_add_f64 v[129:130], v[82:83], v[50:51]
	v_mul_f64 v[208:209], v[125:126], s[36:37]
	v_fma_f64 v[133:134], v[131:132], s[34:35], v[103:104]
	v_fma_f64 v[103:104], v[131:132], s[20:21], v[103:104]
	;; [unrolled: 1-line block ×10, first 2 shown]
	v_add_f64 v[105:106], v[44:45], v[109:110]
	v_add_f64 v[107:108], v[46:47], v[111:112]
	;; [unrolled: 1-line block ×5, first 2 shown]
	v_mul_f64 v[109:110], v[125:126], s[22:23]
	v_mul_f64 v[210:211], v[129:130], s[4:5]
	v_add_f64 v[133:134], v[46:47], v[133:134]
	v_add_f64 v[60:61], v[46:47], v[103:104]
	;; [unrolled: 1-line block ×10, first 2 shown]
	v_mul_f64 v[162:163], v[125:126], s[24:25]
	v_add_f64 v[82:83], v[107:108], v[82:83]
	v_fma_f64 v[46:47], v[44:45], s[6:7], v[109:110]
	v_add_f64 v[76:77], v[82:83], v[76:77]
	v_add_f64 v[137:138], v[46:47], v[111:112]
	v_add_f64 v[46:47], v[80:81], -v[48:49]
	v_mul_f64 v[111:112], v[129:130], s[6:7]
	v_add_f64 v[80:81], v[105:106], v[80:81]
	v_add_f64 v[74:75], v[76:77], v[74:75]
	v_fma_f64 v[135:136], v[46:47], s[28:29], v[111:112]
	v_add_f64 v[80:81], v[80:81], v[84:85]
	v_add_f64 v[68:69], v[74:75], v[68:69]
	v_fma_f64 v[74:75], v[44:45], s[6:7], -v[109:110]
	v_add_f64 v[154:155], v[135:136], v[133:134]
	v_add_f64 v[133:134], v[84:85], v[56:57]
	v_mul_f64 v[135:136], v[166:167], s[18:19]
	v_add_f64 v[72:73], v[80:81], v[72:73]
	v_add_f64 v[68:69], v[68:69], v[86:87]
	;; [unrolled: 1-line block ×3, first 2 shown]
	v_fma_f64 v[139:140], v[133:134], s[4:5], v[135:136]
	v_add_f64 v[72:73], v[72:73], v[78:79]
	v_fma_f64 v[76:77], v[133:134], s[4:5], -v[135:136]
	v_add_f64 v[66:67], v[68:69], v[66:67]
	v_add_f64 v[156:157], v[139:140], v[137:138]
	v_add_f64 v[137:138], v[84:85], -v[56:57]
	v_mul_f64 v[139:140], v[168:169], s[4:5]
	v_add_f64 v[70:71], v[72:73], v[70:71]
	v_add_f64 v[62:63], v[76:77], v[62:63]
	v_fma_f64 v[76:77], v[190:191], s[26:27], v[192:193]
	v_add_f64 v[58:59], v[66:67], v[58:59]
	v_fma_f64 v[158:159], v[137:138], s[36:37], v[139:140]
	;; [unrolled: 2-line block ×3, first 2 shown]
	v_fma_f64 v[70:71], v[178:179], s[24:25], v[180:181]
	v_add_f64 v[58:59], v[58:59], v[50:51]
	v_add_f64 v[154:155], v[158:159], v[154:155]
	v_fma_f64 v[158:159], v[172:173], s[16:17], v[174:175]
	v_add_f64 v[56:57], v[64:65], v[56:57]
	v_fma_f64 v[64:65], v[184:185], s[14:15], -v[186:187]
	v_add_f64 v[54:55], v[58:59], v[54:55]
	v_add_f64 v[156:157], v[158:159], v[156:157]
	v_fma_f64 v[158:159], v[178:179], s[38:39], v[180:181]
	v_add_f64 v[56:57], v[56:57], v[48:49]
	v_add_f64 v[158:159], v[158:159], v[154:155]
	v_fma_f64 v[154:155], v[184:185], s[14:15], v[186:187]
	;; [unrolled: 3-line block ×3, first 2 shown]
	v_add_f64 v[156:157], v[156:157], v[158:159]
	v_fma_f64 v[158:159], v[44:45], s[16:17], v[162:163]
	v_add_f64 v[158:159], v[158:159], v[164:165]
	v_mul_f64 v[164:165], v[129:130], s[16:17]
	v_fma_f64 v[160:161], v[46:47], s[38:39], v[164:165]
	v_add_f64 v[149:150], v[160:161], v[149:150]
	v_fma_f64 v[160:161], v[133:134], s[14:15], v[194:195]
	v_add_f64 v[158:159], v[160:161], v[158:159]
	v_fma_f64 v[160:161], v[137:138], s[26:27], v[196:197]
	v_add_f64 v[149:150], v[160:161], v[149:150]
	v_fma_f64 v[160:161], v[172:173], s[4:5], v[198:199]
	v_add_f64 v[158:159], v[160:161], v[158:159]
	v_fma_f64 v[160:161], v[178:179], s[18:19], v[200:201]
	v_add_f64 v[149:150], v[160:161], v[149:150]
	v_fma_f64 v[160:161], v[184:185], s[8:9], v[202:203]
	v_add_f64 v[158:159], v[160:161], v[158:159]
	v_fma_f64 v[160:161], v[190:191], s[20:21], v[204:205]
	v_add_f64 v[160:161], v[160:161], v[149:150]
	v_fma_f64 v[149:150], v[44:45], s[16:17], -v[162:163]
	v_fma_f64 v[162:163], v[190:191], s[34:35], v[204:205]
	v_mul_f64 v[204:205], v[182:183], s[24:25]
	v_add_f64 v[147:148], v[149:150], v[147:148]
	v_fma_f64 v[149:150], v[46:47], s[24:25], v[164:165]
	v_fma_f64 v[66:67], v[184:185], s[16:17], -v[204:205]
	v_add_f64 v[145:146], v[149:150], v[145:146]
	v_fma_f64 v[149:150], v[133:134], s[14:15], -v[194:195]
	v_mul_f64 v[194:195], v[129:130], s[14:15]
	v_add_f64 v[147:148], v[149:150], v[147:148]
	v_fma_f64 v[149:150], v[137:138], s[30:31], v[196:197]
	v_mul_f64 v[196:197], v[166:167], s[28:29]
	v_fma_f64 v[72:73], v[46:47], s[30:31], v[194:195]
	v_add_f64 v[145:146], v[149:150], v[145:146]
	v_fma_f64 v[149:150], v[172:173], s[4:5], -v[198:199]
	v_mul_f64 v[198:199], v[168:169], s[6:7]
	v_fma_f64 v[78:79], v[133:134], s[6:7], -v[196:197]
	v_add_f64 v[72:73], v[72:73], v[103:104]
	v_add_f64 v[147:148], v[149:150], v[147:148]
	v_fma_f64 v[149:150], v[178:179], s[36:37], v[200:201]
	v_mul_f64 v[200:201], v[170:171], s[20:21]
	v_fma_f64 v[82:83], v[137:138], s[28:29], v[198:199]
	v_add_f64 v[149:150], v[149:150], v[145:146]
	v_fma_f64 v[145:146], v[184:185], s[8:9], -v[202:203]
	v_mul_f64 v[202:203], v[176:177], s[8:9]
	v_fma_f64 v[68:69], v[172:173], s[8:9], -v[200:201]
	v_add_f64 v[72:73], v[82:83], v[72:73]
	v_add_f64 v[145:146], v[145:146], v[147:148]
	;; [unrolled: 1-line block ×3, first 2 shown]
	v_mul_f64 v[149:150], v[125:126], s[30:31]
	v_mul_f64 v[125:126], v[125:126], s[34:35]
	v_fma_f64 v[74:75], v[178:179], s[20:21], v[202:203]
	v_fma_f64 v[162:163], v[44:45], s[14:15], v[149:150]
	v_add_f64 v[143:144], v[162:163], v[143:144]
	v_fma_f64 v[162:163], v[46:47], s[26:27], v[194:195]
	v_add_f64 v[141:142], v[162:163], v[141:142]
	;; [unrolled: 2-line block ×15, first 2 shown]
	v_mul_f64 v[131:132], v[188:189], s[6:7]
	v_fma_f64 v[164:165], v[190:191], s[22:23], v[131:132]
	v_fma_f64 v[131:132], v[190:191], s[28:29], v[131:132]
	v_add_f64 v[164:165], v[164:165], v[127:128]
	v_fma_f64 v[127:128], v[44:45], s[4:5], -v[208:209]
	v_add_f64 v[123:124], v[127:128], v[123:124]
	v_fma_f64 v[127:128], v[46:47], s[36:37], v[210:211]
	v_add_f64 v[121:122], v[127:128], v[121:122]
	v_fma_f64 v[127:128], v[133:134], s[8:9], -v[212:213]
	v_add_f64 v[123:124], v[127:128], v[123:124]
	;; [unrolled: 4-line block ×4, first 2 shown]
	v_add_f64 v[123:124], v[131:132], v[127:128]
	v_fma_f64 v[127:128], v[44:45], s[8:9], v[125:126]
	v_fma_f64 v[125:126], v[44:45], s[8:9], -v[125:126]
	v_fma_f64 v[44:45], v[44:45], s[14:15], -v[149:150]
	v_add_f64 v[119:120], v[127:128], v[119:120]
	v_mul_f64 v[127:128], v[129:130], s[8:9]
	v_add_f64 v[115:116], v[125:126], v[115:116]
	v_add_f64 v[44:45], v[44:45], v[101:102]
	v_fma_f64 v[129:130], v[46:47], s[20:21], v[127:128]
	v_fma_f64 v[125:126], v[46:47], s[34:35], v[127:128]
	;; [unrolled: 1-line block ×3, first 2 shown]
	v_add_f64 v[44:45], v[78:79], v[44:45]
	v_fma_f64 v[78:79], v[190:191], s[24:25], v[206:207]
	v_add_f64 v[117:118], v[129:130], v[117:118]
	v_mul_f64 v[129:130], v[166:167], s[24:25]
	v_add_f64 v[113:114], v[125:126], v[113:114]
	v_add_f64 v[46:47], v[46:47], v[60:61]
	v_fma_f64 v[60:61], v[172:173], s[16:17], -v[174:175]
	v_fma_f64 v[131:132], v[133:134], s[16:17], v[129:130]
	v_fma_f64 v[125:126], v[133:134], s[16:17], -v[129:130]
	v_add_f64 v[46:47], v[80:81], v[46:47]
	v_add_f64 v[60:61], v[60:61], v[62:63]
	;; [unrolled: 1-line block ×4, first 2 shown]
	v_lshrrev_b32_e32 v44, 1, v90
	v_mul_u32_u24_e32 v44, 22, v44
	v_add_f64 v[119:120], v[131:132], v[119:120]
	v_mul_f64 v[131:132], v[168:169], s[16:17]
	v_add_f64 v[115:116], v[125:126], v[115:116]
	v_add_f64 v[46:47], v[70:71], v[46:47]
	v_or_b32_e32 v70, v44, v153
	v_add_f64 v[48:49], v[66:67], v[62:63]
	v_add_f64 v[50:51], v[78:79], v[68:69]
	;; [unrolled: 1-line block ×3, first 2 shown]
	v_lshlrev_b32_e32 v56, 4, v70
	v_add3_u32 v56, 0, v56, v97
	v_fma_f64 v[166:167], v[137:138], s[38:39], v[131:132]
	v_fma_f64 v[125:126], v[137:138], s[24:25], v[131:132]
	v_add_f64 v[46:47], v[76:77], v[46:47]
	v_add_f64 v[117:118], v[166:167], v[117:118]
	v_mul_f64 v[166:167], v[170:171], s[28:29]
	v_add_f64 v[113:114], v[125:126], v[113:114]
	v_fma_f64 v[168:169], v[172:173], s[6:7], v[166:167]
	v_fma_f64 v[125:126], v[172:173], s[6:7], -v[166:167]
	v_add_f64 v[119:120], v[168:169], v[119:120]
	v_mul_f64 v[168:169], v[176:177], s[6:7]
	v_mul_f64 v[176:177], v[182:183], s[18:19]
	v_mul_f64 v[182:183], v[188:189], s[4:5]
	v_add_f64 v[115:116], v[125:126], v[115:116]
	v_fma_f64 v[170:171], v[178:179], s[22:23], v[168:169]
	v_fma_f64 v[125:126], v[178:179], s[28:29], v[168:169]
	;; [unrolled: 1-line block ×3, first 2 shown]
	v_add_f64 v[170:171], v[170:171], v[117:118]
	v_fma_f64 v[117:118], v[184:185], s[4:5], v[176:177]
	v_add_f64 v[125:126], v[125:126], v[113:114]
	v_fma_f64 v[113:114], v[184:185], s[4:5], -v[176:177]
	v_add_f64 v[117:118], v[117:118], v[119:120]
	v_fma_f64 v[119:120], v[190:191], s[36:37], v[182:183]
	v_add_f64 v[113:114], v[113:114], v[115:116]
	v_add_f64 v[115:116], v[127:128], v[125:126]
	;; [unrolled: 1-line block ×3, first 2 shown]
	ds_write_b128 v56, v[154:157] offset:32
	ds_write_b128 v56, v[158:161] offset:64
	;; [unrolled: 1-line block ×9, first 2 shown]
	ds_write_b128 v56, v[52:55]
	ds_write_b128 v56, v[44:47] offset:320
	s_and_saveexec_b32 s1, s0
	s_cbranch_execz .LBB0_16
; %bb.15:
	v_and_b32_e32 v117, 1, v94
	v_lshrrev_b32_e32 v118, 1, v94
	v_mul_u32_u24_e32 v44, 10, v117
	v_lshlrev_b32_e32 v80, 4, v44
	s_clause 0x9
	global_load_dwordx4 v[68:71], v80, s[12:13] offset:64
	global_load_dwordx4 v[64:67], v80, s[12:13] offset:80
	;; [unrolled: 1-line block ×8, first 2 shown]
	global_load_dwordx4 v[76:79], v80, s[12:13]
	global_load_dwordx4 v[80:83], v80, s[12:13] offset:144
	s_waitcnt vmcnt(9)
	v_mul_f64 v[84:85], v[22:23], v[70:71]
	s_waitcnt vmcnt(8)
	v_mul_f64 v[86:87], v[26:27], v[66:67]
	v_mul_f64 v[66:67], v[24:25], v[66:67]
	s_waitcnt vmcnt(6)
	v_mul_f64 v[103:104], v[30:31], v[62:63]
	s_waitcnt vmcnt(5)
	v_mul_f64 v[105:106], v[14:15], v[50:51]
	v_mul_f64 v[62:63], v[28:29], v[62:63]
	s_waitcnt vmcnt(3)
	v_mul_f64 v[109:110], v[6:7], v[54:55]
	s_waitcnt vmcnt(2)
	;; [unrolled: 2-line block ×4, first 2 shown]
	v_mul_f64 v[115:116], v[42:43], v[82:83]
	v_mul_f64 v[78:79], v[8:9], v[78:79]
	;; [unrolled: 1-line block ×11, first 2 shown]
	v_fma_f64 v[20:21], v[20:21], v[68:69], v[84:85]
	v_fma_f64 v[24:25], v[24:25], v[64:65], v[86:87]
	v_fma_f64 v[26:27], v[26:27], v[64:65], -v[66:67]
	v_fma_f64 v[28:29], v[28:29], v[60:61], v[103:104]
	v_fma_f64 v[12:13], v[12:13], v[48:49], v[105:106]
	v_fma_f64 v[30:31], v[30:31], v[60:61], -v[62:63]
	v_fma_f64 v[4:5], v[4:5], v[52:53], v[109:110]
	v_fma_f64 v[36:37], v[36:37], v[72:73], v[111:112]
	;; [unrolled: 1-line block ×4, first 2 shown]
	v_fma_f64 v[10:11], v[10:11], v[76:77], -v[78:79]
	v_fma_f64 v[42:43], v[42:43], v[80:81], -v[82:83]
	;; [unrolled: 1-line block ×5, first 2 shown]
	v_fma_f64 v[16:17], v[16:17], v[44:45], v[101:102]
	v_fma_f64 v[32:33], v[32:33], v[56:57], v[107:108]
	v_fma_f64 v[22:23], v[22:23], v[68:69], -v[70:71]
	v_fma_f64 v[18:19], v[18:19], v[44:45], -v[46:47]
	;; [unrolled: 1-line block ×3, first 2 shown]
	v_mul_lo_u32 v44, v118, 22
	v_add_f64 v[70:71], v[20:21], v[24:25]
	v_or_b32_e32 v249, v44, v117
	v_add_f64 v[50:51], v[4:5], -v[36:37]
	v_add_f64 v[78:79], v[4:5], v[36:37]
	v_add_f64 v[52:53], v[8:9], -v[40:41]
	v_add_f64 v[66:67], v[8:9], v[40:41]
	;; [unrolled: 2-line block ×3, first 2 shown]
	v_add_f64 v[10:11], v[2:3], v[10:11]
	v_add_f64 v[8:9], v[0:1], v[8:9]
	;; [unrolled: 1-line block ×3, first 2 shown]
	v_add_f64 v[76:77], v[6:7], -v[38:39]
	v_add_f64 v[44:45], v[20:21], -v[24:25]
	;; [unrolled: 1-line block ×7, first 2 shown]
	v_add_f64 v[56:57], v[22:23], v[26:27]
	v_add_f64 v[58:59], v[18:19], v[30:31]
	;; [unrolled: 1-line block ×5, first 2 shown]
	v_mul_f64 v[103:104], v[50:51], s[34:35]
	v_mul_f64 v[115:116], v[50:51], s[36:37]
	;; [unrolled: 1-line block ×6, first 2 shown]
	v_add_f64 v[6:7], v[10:11], v[6:7]
	v_add_f64 v[4:5], v[8:9], v[4:5]
	v_mul_f64 v[129:130], v[52:53], s[18:19]
	v_mul_f64 v[131:132], v[54:55], s[18:19]
	;; [unrolled: 1-line block ×20, first 2 shown]
	v_add_f64 v[6:7], v[6:7], v[14:15]
	v_add_f64 v[4:5], v[4:5], v[12:13]
	v_mul_f64 v[46:47], v[46:47], s[24:25]
	v_mul_f64 v[48:49], v[48:49], s[18:19]
	;; [unrolled: 1-line block ×20, first 2 shown]
	v_add_f64 v[6:7], v[6:7], v[18:19]
	v_add_f64 v[4:5], v[4:5], v[16:17]
	v_mul_f64 v[169:170], v[80:81], s[20:21]
	v_mul_f64 v[171:172], v[80:81], s[28:29]
	;; [unrolled: 1-line block ×4, first 2 shown]
	v_fma_f64 v[181:182], v[64:65], s[14:15], v[105:106]
	v_fma_f64 v[183:184], v[66:67], s[14:15], -v[107:108]
	v_fma_f64 v[105:106], v[64:65], s[14:15], -v[105:106]
	v_fma_f64 v[107:108], v[66:67], s[14:15], v[107:108]
	v_fma_f64 v[191:192], v[64:65], s[16:17], v[117:118]
	;; [unrolled: 1-line block ×3, first 2 shown]
	v_fma_f64 v[211:212], v[66:67], s[8:9], -v[54:55]
	v_fma_f64 v[52:53], v[64:65], s[8:9], -v[52:53]
	v_fma_f64 v[54:55], v[66:67], s[8:9], v[54:55]
	v_fma_f64 v[193:194], v[66:67], s[16:17], -v[119:120]
	v_fma_f64 v[117:118], v[64:65], s[16:17], -v[117:118]
	v_fma_f64 v[205:206], v[64:65], s[6:7], v[139:140]
	;; [unrolled: 3-line block ×3, first 2 shown]
	v_fma_f64 v[201:202], v[64:65], s[4:5], v[129:130]
	v_fma_f64 v[203:204], v[66:67], s[4:5], -v[131:132]
	v_fma_f64 v[129:130], v[64:65], s[4:5], -v[129:130]
	v_fma_f64 v[131:132], v[66:67], s[4:5], v[131:132]
	v_fma_f64 v[119:120], v[66:67], s[16:17], v[119:120]
	v_add_f64 v[6:7], v[6:7], v[22:23]
	v_add_f64 v[4:5], v[4:5], v[20:21]
	v_fma_f64 v[175:176], v[56:57], s[4:5], v[84:85]
	v_fma_f64 v[177:178], v[58:59], s[6:7], v[86:87]
	v_fma_f64 v[179:180], v[60:61], s[16:17], v[101:102]
	v_fma_f64 v[84:85], v[56:57], s[4:5], -v[84:85]
	v_fma_f64 v[86:87], v[58:59], s[6:7], -v[86:87]
	v_fma_f64 v[101:102], v[60:61], s[16:17], -v[101:102]
	v_fma_f64 v[185:186], v[56:57], s[6:7], v[109:110]
	v_fma_f64 v[187:188], v[58:59], s[14:15], v[111:112]
	v_fma_f64 v[189:190], v[60:61], s[8:9], v[113:114]
	v_fma_f64 v[109:110], v[56:57], s[6:7], -v[109:110]
	v_fma_f64 v[111:112], v[58:59], s[14:15], -v[111:112]
	v_fma_f64 v[113:114], v[60:61], s[8:9], -v[113:114]
	;; [unrolled: 6-line block ×4, first 2 shown]
	v_fma_f64 v[215:216], v[56:57], s[14:15], v[44:45]
	v_fma_f64 v[44:45], v[56:57], s[14:15], -v[44:45]
	v_fma_f64 v[56:57], v[58:59], s[16:17], v[46:47]
	v_fma_f64 v[46:47], v[58:59], s[16:17], -v[46:47]
	v_fma_f64 v[58:59], v[60:61], s[4:5], v[48:49]
	v_fma_f64 v[48:49], v[60:61], s[4:5], -v[48:49]
	v_fma_f64 v[60:61], v[62:63], s[8:9], v[103:104]
	v_fma_f64 v[103:104], v[62:63], s[8:9], -v[103:104]
	v_fma_f64 v[217:218], v[62:63], s[4:5], v[115:116]
	v_fma_f64 v[115:116], v[62:63], s[4:5], -v[115:116]
	v_fma_f64 v[219:220], v[62:63], s[14:15], v[127:128]
	v_fma_f64 v[127:128], v[62:63], s[14:15], -v[127:128]
	v_fma_f64 v[221:222], v[62:63], s[16:17], v[143:144]
	v_fma_f64 v[143:144], v[62:63], s[16:17], -v[143:144]
	v_fma_f64 v[223:224], v[62:63], s[6:7], v[50:51]
	v_fma_f64 v[12:13], v[62:63], s[6:7], -v[50:51]
	v_fma_f64 v[14:15], v[70:71], s[4:5], -v[145:146]
	v_fma_f64 v[50:51], v[70:71], s[4:5], v[145:146]
	v_fma_f64 v[62:63], v[70:71], s[6:7], -v[147:148]
	v_fma_f64 v[145:146], v[70:71], s[6:7], v[147:148]
	;; [unrolled: 2-line block ×20, first 2 shown]
	v_add_f64 v[82:83], v[2:3], v[105:106]
	v_add_f64 v[105:106], v[0:1], v[107:108]
	;; [unrolled: 1-line block ×95, first 2 shown]
	v_lshlrev_b32_e32 v44, 4, v249
	v_add_f64 v[22:23], v[133:134], v[58:59]
	v_add_f64 v[20:21], v[153:154], v[20:21]
	;; [unrolled: 1-line block ×15, first 2 shown]
	v_add3_u32 v44, 0, v44, v97
	ds_write_b128 v44, v[24:27] offset:32
	ds_write_b128 v44, v[20:23] offset:64
	;; [unrolled: 1-line block ×9, first 2 shown]
	ds_write_b128 v44, v[40:43]
	ds_write_b128 v44, v[36:39] offset:320
.LBB0_16:
	s_or_b32 exec_lo, exec_lo, s1
	v_lshrrev_b16 v0, 1, v90
	v_lshrrev_b16 v1, 1, v94
	v_mov_b32_e32 v2, 6
	s_waitcnt lgkmcnt(0)
	s_barrier
	v_and_b32_e32 v0, 0x7f, v0
	buffer_gl0_inv
	v_lshlrev_b32_e32 v107, 4, v100
	v_lshlrev_b32_e32 v108, 4, v98
	;; [unrolled: 1-line block ×3, first 2 shown]
	v_mul_lo_u16 v0, 0xbb, v0
	v_mul_u32_u24_e32 v111, 6, v90
	v_add3_u32 v157, 0, v107, v97
	v_add3_u32 v158, 0, v108, v97
	v_add3_u32 v109, 0, v109, v97
	v_lshrrev_b16 v105, 11, v0
	v_and_b32_e32 v0, 0x7f, v1
	v_add3_u32 v99, 0, v99, v97
	v_lshlrev_b32_e32 v127, 4, v111
	s_mov_b32 s14, 0x37e14327
	v_mul_lo_u16 v1, v105, 22
	v_mul_lo_u16 v0, 0xbb, v0
	s_mov_b32 s4, 0x36b3c0b5
	s_mov_b32 s22, 0xe976ee23
	;; [unrolled: 1-line block ×3, first 2 shown]
	v_sub_nc_u16 v103, v90, v1
	v_lshrrev_b16 v106, 11, v0
	s_mov_b32 s5, 0x3fac98ee
	s_mov_b32 s23, 0x3fe11646
	;; [unrolled: 1-line block ×3, first 2 shown]
	v_mul_u32_u24_sdwa v0, v103, v2 dst_sel:DWORD dst_unused:UNUSED_PAD src0_sel:BYTE_0 src1_sel:DWORD
	v_mul_lo_u16 v1, v106, 22
	s_mov_b32 s7, 0xbfebfeb5
	s_mov_b32 s8, 0xaaaaaaaa
	;; [unrolled: 1-line block ×3, first 2 shown]
	v_lshlrev_b32_e32 v0, 4, v0
	v_sub_nc_u16 v104, v94, v1
	s_mov_b32 s24, 0xb247c609
	s_mov_b32 s9, 0xbff2aaaa
	;; [unrolled: 1-line block ×3, first 2 shown]
	s_clause 0x1
	global_load_dwordx4 v[16:19], v0, s[12:13] offset:320
	global_load_dwordx4 v[12:15], v0, s[12:13] offset:336
	v_mul_u32_u24_sdwa v1, v104, v2 dst_sel:DWORD dst_unused:UNUSED_PAD src0_sel:BYTE_0 src1_sel:DWORD
	s_clause 0x1
	global_load_dwordx4 v[4:7], v0, s[12:13] offset:352
	global_load_dwordx4 v[20:23], v0, s[12:13] offset:400
	s_mov_b32 s17, 0xbfe77f67
	s_mov_b32 s25, 0xbfd5d0dc
	;; [unrolled: 1-line block ×3, first 2 shown]
	v_lshlrev_b32_e32 v1, 4, v1
	s_mov_b32 s27, 0x3fd5d0dc
	s_clause 0x7
	global_load_dwordx4 v[24:27], v0, s[12:13] offset:384
	global_load_dwordx4 v[8:11], v0, s[12:13] offset:368
	;; [unrolled: 1-line block ×8, first 2 shown]
	ds_read_b128 v[0:3], v152
	ds_read_b128 v[64:67], v95 offset:3696
	ds_read_b128 v[60:63], v95 offset:6160
	;; [unrolled: 1-line block ×9, first 2 shown]
	ds_read_b128 v[111:114], v157
	ds_read_b128 v[115:118], v158
	;; [unrolled: 1-line block ×4, first 2 shown]
	s_mov_b32 s26, s24
	s_mov_b32 s18, 0x37c3f68c
	;; [unrolled: 1-line block ×3, first 2 shown]
	v_mov_b32_e32 v102, 0
	v_mul_i32_i24_e32 v101, 6, v94
	v_mov_b32_e32 v110, 4
	s_waitcnt vmcnt(0) lgkmcnt(0)
	s_barrier
	buffer_gl0_inv
	v_lshlrev_b64 v[107:108], 4, v[101:102]
	v_add_co_u32 v101, s0, s12, v127
	v_add_co_ci_u32_e64 v130, null, s13, 0, s0
	v_lshlrev_b32_sdwa v103, v110, v103 dst_sel:DWORD dst_unused:UNUSED_PAD src0_sel:DWORD src1_sel:BYTE_0
	v_add_co_u32 v159, s0, s12, v107
	v_add_co_ci_u32_e64 v160, s0, s13, v108, s0
	v_add_co_u32 v107, s0, 0x980, v101
	v_add_co_ci_u32_e64 v108, s0, 0, v130, s0
	;; [unrolled: 2-line block ×3, first 2 shown]
	v_add_co_u32 v129, s0, 0x9c0, v101
	v_and_b32_e32 v101, 0xffff, v105
	v_and_b32_e32 v105, 0xffff, v106
	v_lshlrev_b32_sdwa v104, v110, v104 dst_sel:DWORD dst_unused:UNUSED_PAD src0_sel:DWORD src1_sel:BYTE_0
	v_add_co_ci_u32_e64 v130, s0, 0, v130, s0
	v_mad_u32_u24 v101, 0x9a0, v101, 0
	v_mad_u32_u24 v105, 0x9a0, v105, 0
	s_add_u32 s1, s12, 0x4340
	v_mul_f64 v[131:132], v[113:114], v[18:19]
	v_mul_f64 v[18:19], v[111:112], v[18:19]
	;; [unrolled: 1-line block ×24, first 2 shown]
	v_fma_f64 v[111:112], v[111:112], v[16:17], v[131:132]
	v_fma_f64 v[16:17], v[113:114], v[16:17], -v[18:19]
	v_fma_f64 v[18:19], v[115:116], v[12:13], v[133:134]
	v_fma_f64 v[12:13], v[117:118], v[12:13], -v[14:15]
	;; [unrolled: 2-line block ×12, first 2 shown]
	v_add_f64 v[42:43], v[111:112], v[14:15]
	v_add_f64 v[52:53], v[16:17], v[20:21]
	;; [unrolled: 1-line block ×4, first 2 shown]
	v_add_f64 v[14:15], v[111:112], -v[14:15]
	v_add_f64 v[16:17], v[16:17], -v[20:21]
	v_add_f64 v[20:21], v[26:27], v[6:7]
	v_add_f64 v[58:59], v[4:5], v[8:9]
	v_add_f64 v[18:19], v[18:19], -v[22:23]
	v_add_f64 v[12:13], v[12:13], -v[24:25]
	v_add_f64 v[6:7], v[6:7], -v[26:27]
	v_add_f64 v[4:5], v[8:9], -v[4:5]
	v_add_f64 v[8:9], v[10:11], v[38:39]
	v_add_f64 v[22:23], v[36:37], v[44:45]
	v_add_f64 v[24:25], v[36:37], -v[44:45]
	v_add_f64 v[26:27], v[46:47], v[34:35]
	v_add_f64 v[36:37], v[32:33], v[48:49]
	v_add_f64 v[34:35], v[46:47], -v[34:35]
	v_add_f64 v[10:11], v[10:11], -v[38:39]
	v_add_f64 v[44:45], v[28:29], v[40:41]
	v_add_f64 v[28:29], v[40:41], -v[28:29]
	v_add_f64 v[32:33], v[32:33], -v[48:49]
	v_add_f64 v[38:39], v[50:51], v[30:31]
	v_add_f64 v[30:31], v[30:31], -v[50:51]
	v_add_f64 v[40:41], v[54:55], v[42:43]
	v_add_f64 v[46:47], v[56:57], v[52:53]
	v_add_f64 v[48:49], v[54:55], -v[42:43]
	v_add_f64 v[50:51], v[56:57], -v[52:53]
	v_add_f64 v[42:43], v[42:43], -v[20:21]
	v_add_f64 v[52:53], v[52:53], -v[58:59]
	v_add_f64 v[54:55], v[20:21], -v[54:55]
	v_add_f64 v[56:57], v[58:59], -v[56:57]
	v_add_f64 v[60:61], v[6:7], v[18:19]
	v_add_f64 v[62:63], v[4:5], v[12:13]
	v_add_f64 v[64:65], v[6:7], -v[18:19]
	v_add_f64 v[66:67], v[4:5], -v[12:13]
	;; [unrolled: 1-line block ×4, first 2 shown]
	v_add_f64 v[4:5], v[26:27], v[8:9]
	v_add_f64 v[6:7], v[36:37], v[22:23]
	v_add_f64 v[18:19], v[18:19], -v[14:15]
	v_add_f64 v[12:13], v[12:13], -v[16:17]
	;; [unrolled: 1-line block ×6, first 2 shown]
	v_add_f64 v[20:21], v[20:21], v[40:41]
	v_add_f64 v[40:41], v[58:59], v[46:47]
	v_add_f64 v[26:27], v[38:39], -v[26:27]
	v_add_f64 v[36:37], v[44:45], -v[36:37]
	;; [unrolled: 1-line block ×4, first 2 shown]
	v_add_f64 v[76:77], v[30:31], v[34:35]
	v_add_f64 v[78:79], v[28:29], v[32:33]
	v_add_f64 v[34:35], v[34:35], -v[10:11]
	v_add_f64 v[32:33], v[32:33], -v[24:25]
	v_add_f64 v[14:15], v[60:61], v[14:15]
	v_add_f64 v[16:17], v[62:63], v[16:17]
	v_mul_f64 v[42:43], v[42:43], s[14:15]
	v_mul_f64 v[46:47], v[52:53], s[14:15]
	v_add_f64 v[38:39], v[38:39], v[4:5]
	v_add_f64 v[44:45], v[44:45], v[6:7]
	v_mul_f64 v[52:53], v[54:55], s[4:5]
	v_mul_f64 v[58:59], v[56:57], s[4:5]
	;; [unrolled: 1-line block ×6, first 2 shown]
	v_add_f64 v[0:1], v[0:1], v[20:21]
	v_add_f64 v[2:3], v[2:3], v[40:41]
	v_add_f64 v[30:31], v[10:11], -v[30:31]
	v_add_f64 v[28:29], v[24:25], -v[28:29]
	v_mul_f64 v[8:9], v[8:9], s[14:15]
	v_mul_f64 v[22:23], v[22:23], s[14:15]
	;; [unrolled: 1-line block ×6, first 2 shown]
	v_add_f64 v[10:11], v[76:77], v[10:11]
	v_add_f64 v[24:25], v[78:79], v[24:25]
	v_mul_f64 v[76:77], v[26:27], s[4:5]
	v_mul_f64 v[78:79], v[36:37], s[4:5]
	v_add_f64 v[4:5], v[123:124], v[38:39]
	v_add_f64 v[6:7], v[125:126], v[44:45]
	v_fma_f64 v[54:55], v[54:55], s[4:5], v[42:43]
	v_fma_f64 v[56:57], v[56:57], s[4:5], v[46:47]
	v_fma_f64 v[52:53], v[48:49], s[20:21], -v[52:53]
	v_fma_f64 v[58:59], v[50:51], s[20:21], -v[58:59]
	;; [unrolled: 1-line block ×4, first 2 shown]
	v_fma_f64 v[48:49], v[68:69], s[24:25], v[60:61]
	v_fma_f64 v[50:51], v[70:71], s[24:25], v[62:63]
	;; [unrolled: 1-line block ×4, first 2 shown]
	v_fma_f64 v[18:19], v[18:19], s[6:7], -v[60:61]
	v_fma_f64 v[12:13], v[12:13], s[6:7], -v[62:63]
	;; [unrolled: 1-line block ×4, first 2 shown]
	v_fma_f64 v[26:27], v[26:27], s[4:5], v[8:9]
	v_fma_f64 v[36:37], v[36:37], s[4:5], v[22:23]
	;; [unrolled: 1-line block ×4, first 2 shown]
	v_fma_f64 v[30:31], v[30:31], s[26:27], -v[84:85]
	v_fma_f64 v[28:29], v[28:29], s[26:27], -v[86:87]
	v_fma_f64 v[38:39], v[38:39], s[8:9], v[4:5]
	v_fma_f64 v[44:45], v[44:45], s[8:9], v[6:7]
	v_fma_f64 v[8:9], v[72:73], s[16:17], -v[8:9]
	v_fma_f64 v[22:23], v[74:75], s[16:17], -v[22:23]
	;; [unrolled: 1-line block ×6, first 2 shown]
	v_fma_f64 v[48:49], v[14:15], s[18:19], v[48:49]
	v_fma_f64 v[50:51], v[16:17], s[18:19], v[50:51]
	v_add_f64 v[54:55], v[54:55], v[20:21]
	v_add_f64 v[56:57], v[56:57], v[40:41]
	;; [unrolled: 1-line block ×4, first 2 shown]
	v_fma_f64 v[60:61], v[14:15], s[18:19], v[60:61]
	v_fma_f64 v[62:63], v[16:17], s[18:19], v[62:63]
	v_fma_f64 v[72:73], v[14:15], s[18:19], v[18:19]
	v_fma_f64 v[74:75], v[16:17], s[18:19], v[12:13]
	v_add_f64 v[20:21], v[52:53], v[20:21]
	v_add_f64 v[40:41], v[58:59], v[40:41]
	v_fma_f64 v[58:59], v[10:11], s[18:19], v[68:69]
	v_fma_f64 v[52:53], v[24:25], s[18:19], v[70:71]
	v_add_f64 v[80:81], v[26:27], v[38:39]
	v_add_f64 v[82:83], v[36:37], v[44:45]
	v_fma_f64 v[76:77], v[10:11], s[18:19], v[30:31]
	v_fma_f64 v[78:79], v[24:25], s[18:19], v[28:29]
	;; [unrolled: 4-line block ×3, first 2 shown]
	v_add_f64 v[64:65], v[64:65], v[38:39]
	v_add_f64 v[66:67], v[66:67], v[44:45]
	;; [unrolled: 1-line block ×3, first 2 shown]
	v_add_f64 v[10:11], v[56:57], -v[48:49]
	v_add_f64 v[28:29], v[54:55], -v[50:51]
	v_add_f64 v[30:31], v[48:49], v[56:57]
	v_add_f64 v[14:15], v[46:47], -v[60:61]
	v_add_f64 v[12:13], v[62:63], v[42:43]
	;; [unrolled: 2-line block ×4, first 2 shown]
	v_add_f64 v[20:21], v[74:75], v[20:21]
	v_add_f64 v[22:23], v[40:41], -v[72:73]
	v_add_f64 v[32:33], v[52:53], v[80:81]
	v_add_f64 v[34:35], v[82:83], -v[58:59]
	v_add_f64 v[52:53], v[80:81], -v[52:53]
	v_add_f64 v[54:55], v[58:59], v[82:83]
	v_add_f64 v[36:37], v[78:79], v[84:85]
	v_add_f64 v[38:39], v[86:87], -v[76:77]
	v_add_f64 v[48:49], v[84:85], -v[78:79]
	v_add_f64 v[50:51], v[76:77], v[86:87]
	v_add_f64 v[40:41], v[64:65], -v[70:71]
	v_add_f64 v[42:43], v[68:69], v[66:67]
	v_add_f64 v[44:45], v[70:71], v[64:65]
	v_add_f64 v[46:47], v[66:67], -v[68:69]
	v_add3_u32 v58, v101, v103, v97
	v_add_co_u32 v56, s0, 0x800, v159
	v_add_co_ci_u32_e64 v57, s0, 0, v160, s0
	v_add3_u32 v59, v105, v104, v97
	ds_write_b128 v58, v[0:3]
	ds_write_b128 v58, v[8:11] offset:352
	ds_write_b128 v58, v[12:15] offset:704
	;; [unrolled: 1-line block ×6, first 2 shown]
	ds_write_b128 v59, v[4:7]
	ds_write_b128 v59, v[32:35] offset:352
	ds_write_b128 v59, v[36:39] offset:704
	;; [unrolled: 1-line block ×6, first 2 shown]
	v_add_co_u32 v40, s0, 0x980, v159
	s_waitcnt lgkmcnt(0)
	s_barrier
	buffer_gl0_inv
	s_clause 0x4
	global_load_dwordx4 v[0:3], v[127:128], off offset:384
	global_load_dwordx4 v[4:7], v[107:108], off offset:32
	;; [unrolled: 1-line block ×5, first 2 shown]
	v_add_co_ci_u32_e64 v41, s0, 0, v160, s0
	v_add_co_u32 v36, s0, 0x9c0, v159
	v_add_co_ci_u32_e64 v37, s0, 0, v160, s0
	s_clause 0x6
	global_load_dwordx4 v[20:23], v[107:108], off offset:48
	global_load_dwordx4 v[24:27], v[56:57], off offset:384
	;; [unrolled: 1-line block ×7, first 2 shown]
	ds_read_b128 v[48:51], v157
	ds_read_b128 v[52:55], v158
	;; [unrolled: 1-line block ×3, first 2 shown]
	ds_read_b128 v[60:63], v95 offset:14784
	ds_read_b128 v[64:67], v95 offset:12320
	;; [unrolled: 1-line block ×5, first 2 shown]
	ds_read_b128 v[80:83], v99
	ds_read_b128 v[84:87], v95 offset:8624
	ds_read_b128 v[103:106], v95 offset:11088
	ds_read_b128 v[107:110], v95 offset:16016
	ds_read_b128 v[111:114], v95 offset:13552
	s_waitcnt vmcnt(11) lgkmcnt(12)
	v_mul_f64 v[115:116], v[50:51], v[2:3]
	v_mul_f64 v[2:3], v[48:49], v[2:3]
	s_waitcnt vmcnt(9) lgkmcnt(11)
	v_mul_f64 v[117:118], v[54:55], v[10:11]
	v_mul_f64 v[10:11], v[52:53], v[10:11]
	;; [unrolled: 3-line block ×3, first 2 shown]
	s_waitcnt lgkmcnt(8)
	v_mul_f64 v[123:124], v[66:67], v[14:15]
	v_mul_f64 v[14:15], v[64:65], v[14:15]
	;; [unrolled: 1-line block ×4, first 2 shown]
	s_waitcnt vmcnt(6) lgkmcnt(7)
	v_mul_f64 v[125:126], v[70:71], v[22:23]
	v_mul_f64 v[22:23], v[68:69], v[22:23]
	s_waitcnt vmcnt(5) lgkmcnt(6)
	v_mul_f64 v[127:128], v[74:75], v[26:27]
	v_mul_f64 v[26:27], v[72:73], v[26:27]
	;; [unrolled: 3-line block ×5, first 2 shown]
	v_mul_f64 v[131:132], v[86:87], v[34:35]
	v_mul_f64 v[34:35], v[84:85], v[34:35]
	;; [unrolled: 1-line block ×4, first 2 shown]
	v_fma_f64 v[48:49], v[48:49], v[0:1], v[115:116]
	v_fma_f64 v[50:51], v[50:51], v[0:1], -v[2:3]
	v_fma_f64 v[52:53], v[52:53], v[8:9], v[117:118]
	v_fma_f64 v[8:9], v[54:55], v[8:9], -v[10:11]
	;; [unrolled: 2-line block ×12, first 2 shown]
	ds_read_b128 v[0:3], v152
	s_waitcnt lgkmcnt(0)
	v_add_f64 v[42:43], v[48:49], v[10:11]
	v_add_f64 v[54:55], v[50:51], v[16:17]
	;; [unrolled: 1-line block ×4, first 2 shown]
	v_add_f64 v[10:11], v[48:49], -v[10:11]
	v_add_f64 v[16:17], v[50:51], -v[16:17]
	v_add_f64 v[48:49], v[14:15], v[6:7]
	v_add_f64 v[50:51], v[4:5], v[20:21]
	v_add_f64 v[18:19], v[52:53], -v[18:19]
	v_add_f64 v[8:9], v[8:9], -v[12:13]
	;; [unrolled: 1-line block ×4, first 2 shown]
	v_add_f64 v[12:13], v[22:23], v[26:27]
	v_add_f64 v[14:15], v[24:25], v[36:37]
	v_add_f64 v[20:21], v[22:23], -v[26:27]
	v_add_f64 v[22:23], v[24:25], -v[36:37]
	v_add_f64 v[24:25], v[38:39], v[30:31]
	v_add_f64 v[26:27], v[28:29], v[44:45]
	v_add_f64 v[30:31], v[38:39], -v[30:31]
	v_add_f64 v[28:29], v[28:29], -v[44:45]
	v_add_f64 v[38:39], v[32:33], v[40:41]
	v_add_f64 v[32:33], v[40:41], -v[32:33]
	v_add_f64 v[36:37], v[46:47], v[34:35]
	;; [unrolled: 2-line block ×3, first 2 shown]
	v_add_f64 v[44:45], v[58:59], v[54:55]
	v_add_f64 v[46:47], v[56:57], -v[42:43]
	v_add_f64 v[52:53], v[58:59], -v[54:55]
	;; [unrolled: 1-line block ×6, first 2 shown]
	v_add_f64 v[60:61], v[6:7], v[18:19]
	v_add_f64 v[62:63], v[4:5], v[8:9]
	v_add_f64 v[64:65], v[6:7], -v[18:19]
	v_add_f64 v[66:67], v[4:5], -v[8:9]
	;; [unrolled: 1-line block ×4, first 2 shown]
	v_add_f64 v[4:5], v[24:25], v[12:13]
	v_add_f64 v[6:7], v[26:27], v[14:15]
	v_add_f64 v[18:19], v[18:19], -v[10:11]
	v_add_f64 v[8:9], v[8:9], -v[16:17]
	;; [unrolled: 1-line block ×6, first 2 shown]
	v_add_f64 v[40:41], v[48:49], v[40:41]
	v_add_f64 v[44:45], v[50:51], v[44:45]
	v_add_f64 v[24:25], v[36:37], -v[24:25]
	v_add_f64 v[26:27], v[38:39], -v[26:27]
	;; [unrolled: 1-line block ×4, first 2 shown]
	v_add_f64 v[76:77], v[34:35], v[30:31]
	v_add_f64 v[78:79], v[32:33], v[28:29]
	v_add_f64 v[30:31], v[30:31], -v[20:21]
	v_add_f64 v[28:29], v[28:29], -v[22:23]
	v_add_f64 v[10:11], v[60:61], v[10:11]
	v_add_f64 v[16:17], v[62:63], v[16:17]
	v_mul_f64 v[42:43], v[42:43], s[14:15]
	v_mul_f64 v[48:49], v[54:55], s[14:15]
	v_add_f64 v[36:37], v[36:37], v[4:5]
	v_add_f64 v[38:39], v[38:39], v[6:7]
	v_mul_f64 v[50:51], v[56:57], s[4:5]
	v_mul_f64 v[54:55], v[58:59], s[4:5]
	;; [unrolled: 1-line block ×6, first 2 shown]
	v_add_f64 v[0:1], v[0:1], v[40:41]
	v_add_f64 v[2:3], v[2:3], v[44:45]
	v_add_f64 v[34:35], v[20:21], -v[34:35]
	v_add_f64 v[32:33], v[22:23], -v[32:33]
	v_mul_f64 v[12:13], v[12:13], s[14:15]
	v_mul_f64 v[14:15], v[14:15], s[14:15]
	v_mul_f64 v[84:85], v[84:85], s[22:23]
	v_mul_f64 v[86:87], v[86:87], s[22:23]
	v_mul_f64 v[103:104], v[30:31], s[6:7]
	v_mul_f64 v[105:106], v[28:29], s[6:7]
	v_add_f64 v[20:21], v[76:77], v[20:21]
	v_add_f64 v[22:23], v[78:79], v[22:23]
	v_mul_f64 v[76:77], v[24:25], s[4:5]
	v_mul_f64 v[78:79], v[26:27], s[4:5]
	v_add_f64 v[4:5], v[80:81], v[36:37]
	v_add_f64 v[6:7], v[82:83], v[38:39]
	v_fma_f64 v[56:57], v[56:57], s[4:5], v[42:43]
	v_fma_f64 v[58:59], v[58:59], s[4:5], v[48:49]
	v_fma_f64 v[50:51], v[46:47], s[20:21], -v[50:51]
	v_fma_f64 v[54:55], v[52:53], s[20:21], -v[54:55]
	v_fma_f64 v[42:43], v[46:47], s[16:17], -v[42:43]
	v_fma_f64 v[46:47], v[52:53], s[16:17], -v[48:49]
	v_fma_f64 v[48:49], v[68:69], s[24:25], v[60:61]
	v_fma_f64 v[52:53], v[70:71], s[24:25], v[62:63]
	;; [unrolled: 1-line block ×4, first 2 shown]
	v_fma_f64 v[18:19], v[18:19], s[6:7], -v[60:61]
	v_fma_f64 v[8:9], v[8:9], s[6:7], -v[62:63]
	v_fma_f64 v[60:61], v[68:69], s[26:27], -v[64:65]
	v_fma_f64 v[62:63], v[70:71], s[26:27], -v[66:67]
	v_fma_f64 v[24:25], v[24:25], s[4:5], v[12:13]
	v_fma_f64 v[26:27], v[26:27], s[4:5], v[14:15]
	;; [unrolled: 1-line block ×4, first 2 shown]
	v_fma_f64 v[34:35], v[34:35], s[26:27], -v[103:104]
	v_fma_f64 v[32:33], v[32:33], s[26:27], -v[105:106]
	v_fma_f64 v[36:37], v[36:37], s[8:9], v[4:5]
	v_fma_f64 v[38:39], v[38:39], s[8:9], v[6:7]
	v_fma_f64 v[12:13], v[72:73], s[16:17], -v[12:13]
	v_fma_f64 v[14:15], v[74:75], s[16:17], -v[14:15]
	;; [unrolled: 1-line block ×6, first 2 shown]
	v_fma_f64 v[48:49], v[10:11], s[18:19], v[48:49]
	v_fma_f64 v[52:53], v[16:17], s[18:19], v[52:53]
	v_add_f64 v[56:57], v[56:57], v[40:41]
	v_add_f64 v[58:59], v[58:59], v[44:45]
	;; [unrolled: 1-line block ×4, first 2 shown]
	v_fma_f64 v[60:61], v[10:11], s[18:19], v[60:61]
	v_fma_f64 v[62:63], v[16:17], s[18:19], v[62:63]
	;; [unrolled: 1-line block ×4, first 2 shown]
	v_add_f64 v[40:41], v[50:51], v[40:41]
	v_add_f64 v[44:45], v[54:55], v[44:45]
	v_fma_f64 v[54:55], v[20:21], s[18:19], v[68:69]
	v_fma_f64 v[68:69], v[22:23], s[18:19], v[70:71]
	v_add_f64 v[80:81], v[24:25], v[36:37]
	v_add_f64 v[82:83], v[26:27], v[38:39]
	v_fma_f64 v[76:77], v[20:21], s[18:19], v[34:35]
	v_fma_f64 v[78:79], v[22:23], s[18:19], v[32:33]
	;; [unrolled: 4-line block ×3, first 2 shown]
	v_add_f64 v[64:65], v[64:65], v[36:37]
	v_add_f64 v[66:67], v[66:67], v[38:39]
	;; [unrolled: 1-line block ×3, first 2 shown]
	v_add_f64 v[10:11], v[58:59], -v[48:49]
	v_add_f64 v[28:29], v[56:57], -v[52:53]
	v_add_f64 v[30:31], v[48:49], v[58:59]
	v_add_f64 v[14:15], v[46:47], -v[60:61]
	v_add_f64 v[12:13], v[62:63], v[42:43]
	v_add_f64 v[24:25], v[42:43], -v[62:63]
	v_add_f64 v[26:27], v[60:61], v[46:47]
	v_add_f64 v[16:17], v[40:41], -v[74:75]
	v_add_f64 v[18:19], v[72:73], v[44:45]
	v_add_f64 v[20:21], v[74:75], v[40:41]
	v_add_f64 v[22:23], v[44:45], -v[72:73]
	v_add_f64 v[32:33], v[68:69], v[80:81]
	v_add_f64 v[34:35], v[82:83], -v[54:55]
	v_add_f64 v[52:53], v[80:81], -v[68:69]
	v_add_f64 v[54:55], v[54:55], v[82:83]
	v_add_f64 v[36:37], v[78:79], v[84:85]
	v_add_f64 v[38:39], v[86:87], -v[76:77]
	v_add_f64 v[48:49], v[84:85], -v[78:79]
	s_barrier
	v_add_f64 v[40:41], v[64:65], -v[70:71]
	v_add_f64 v[42:43], v[50:51], v[66:67]
	v_add_f64 v[44:45], v[70:71], v[64:65]
	v_add_f64 v[46:47], v[66:67], -v[50:51]
	v_add_f64 v[50:51], v[76:77], v[86:87]
	buffer_gl0_inv
	ds_write_b128 v95, v[0:3]
	ds_write_b128 v95, v[8:11] offset:2464
	ds_write_b128 v95, v[12:15] offset:4928
	;; [unrolled: 1-line block ×6, first 2 shown]
	ds_write_b128 v99, v[4:7]
	ds_write_b128 v99, v[32:35] offset:2464
	ds_write_b128 v99, v[36:39] offset:4928
	;; [unrolled: 1-line block ×6, first 2 shown]
	s_waitcnt lgkmcnt(0)
	s_barrier
	buffer_gl0_inv
	ds_read_b128 v[0:3], v152
	v_sub_nc_u32_e32 v8, v151, v91
	s_addc_u32 s4, s13, 0
	s_mov_b32 s5, exec_lo
                                        ; implicit-def: $vgpr4_vgpr5
                                        ; implicit-def: $vgpr6_vgpr7
	v_cmpx_ne_u32_e32 0, v90
	s_xor_b32 s5, exec_lo, s5
	s_cbranch_execz .LBB0_18
; %bb.17:
	v_mov_b32_e32 v91, v102
	ds_read_b128 v[9:12], v8 offset:17248
	v_lshlrev_b64 v[4:5], 4, v[90:91]
	v_add_co_u32 v4, s0, s1, v4
	v_add_co_ci_u32_e64 v5, s0, s4, v5, s0
	global_load_dwordx4 v[4:7], v[4:5], off
	s_waitcnt lgkmcnt(0)
	v_add_f64 v[13:14], v[0:1], -v[9:10]
	v_add_f64 v[15:16], v[2:3], v[11:12]
	v_add_f64 v[2:3], v[2:3], -v[11:12]
	v_add_f64 v[0:1], v[0:1], v[9:10]
	v_mul_f64 v[11:12], v[13:14], 0.5
	v_mul_f64 v[13:14], v[15:16], 0.5
	;; [unrolled: 1-line block ×3, first 2 shown]
	s_waitcnt vmcnt(0)
	v_mul_f64 v[9:10], v[11:12], v[6:7]
	v_fma_f64 v[15:16], v[13:14], v[6:7], v[2:3]
	v_fma_f64 v[2:3], v[13:14], v[6:7], -v[2:3]
	v_fma_f64 v[6:7], v[0:1], 0.5, v[9:10]
	v_fma_f64 v[0:1], v[0:1], 0.5, -v[9:10]
	v_fma_f64 v[9:10], -v[4:5], v[11:12], v[15:16]
	v_fma_f64 v[2:3], -v[4:5], v[11:12], v[2:3]
	ds_write_b64 v152, v[9:10] offset:8
	ds_write_b64 v8, v[2:3] offset:17256
	v_fma_f64 v[6:7], v[13:14], v[4:5], v[6:7]
	v_fma_f64 v[4:5], -v[13:14], v[4:5], v[0:1]
                                        ; implicit-def: $vgpr0_vgpr1
.LBB0_18:
	s_andn2_saveexec_b32 s0, s5
	s_cbranch_execz .LBB0_20
; %bb.19:
	s_mov_b32 s6, 0
	s_waitcnt lgkmcnt(0)
	v_add_f64 v[6:7], v[0:1], v[2:3]
	s_mov_b32 s7, s6
	v_mov_b32_e32 v4, s6
	v_mov_b32_e32 v5, s7
	ds_write_b64 v152, v[4:5] offset:8
	ds_write_b64 v8, v[4:5] offset:17256
	ds_read_b64 v[9:10], v151 offset:8632
	v_add_f64 v[4:5], v[0:1], -v[2:3]
	s_waitcnt lgkmcnt(0)
	v_xor_b32_e32 v10, 0x80000000, v10
	ds_write_b64 v151, v[9:10] offset:8632
.LBB0_20:
	s_or_b32 exec_lo, exec_lo, s0
	v_mov_b32_e32 v95, 0
	v_lshl_add_u32 v25, v94, 4, v151
	ds_write_b64 v152, v[6:7]
	ds_write_b64 v8, v[4:5] offset:17248
	v_lshl_add_u32 v26, v100, 4, v151
	s_waitcnt lgkmcnt(2)
	v_lshlrev_b64 v[0:1], 4, v[94:95]
	v_mov_b32_e32 v101, v95
	v_add_nc_u32_e32 v94, 0xe7, v90
	v_mov_b32_e32 v99, v95
	v_mov_b32_e32 v97, v95
	v_lshlrev_b64 v[9:10], 4, v[100:101]
	v_add_co_u32 v0, s0, s1, v0
	v_add_co_ci_u32_e64 v1, s0, s4, v1, s0
	v_lshlrev_b64 v[17:18], 4, v[94:95]
	v_add_co_u32 v9, s0, s1, v9
	global_load_dwordx4 v[0:3], v[0:1], off
	v_add_co_ci_u32_e64 v10, s0, s4, v10, s0
	v_add_co_u32 v17, s0, s1, v17
	v_add_co_ci_u32_e64 v18, s0, s4, v18, s0
	global_load_dwordx4 v[9:12], v[9:10], off
	ds_read_b128 v[4:7], v25
	ds_read_b128 v[13:16], v8 offset:16016
	v_add_nc_u32_e32 v94, 0x181, v90
	global_load_dwordx4 v[17:20], v[17:18], off
	s_waitcnt lgkmcnt(0)
	v_add_f64 v[21:22], v[4:5], -v[13:14]
	v_add_f64 v[23:24], v[6:7], v[15:16]
	v_add_f64 v[6:7], v[6:7], -v[15:16]
	v_add_f64 v[4:5], v[4:5], v[13:14]
	v_mul_f64 v[15:16], v[21:22], 0.5
	v_mul_f64 v[21:22], v[23:24], 0.5
	;; [unrolled: 1-line block ×3, first 2 shown]
	s_waitcnt vmcnt(2)
	v_mul_f64 v[13:14], v[15:16], v[2:3]
	v_fma_f64 v[23:24], v[21:22], v[2:3], v[6:7]
	v_fma_f64 v[2:3], v[21:22], v[2:3], -v[6:7]
	v_fma_f64 v[6:7], v[4:5], 0.5, v[13:14]
	v_fma_f64 v[4:5], v[4:5], 0.5, -v[13:14]
	v_fma_f64 v[13:14], -v[0:1], v[15:16], v[23:24]
	v_fma_f64 v[2:3], -v[0:1], v[15:16], v[2:3]
	v_lshlrev_b64 v[15:16], 4, v[98:99]
	v_fma_f64 v[6:7], v[21:22], v[0:1], v[6:7]
	v_fma_f64 v[0:1], -v[21:22], v[0:1], v[4:5]
	ds_write2_b64 v25, v[6:7], v[13:14] offset1:1
	ds_write_b128 v8, v[0:3] offset:16016
	v_add_co_u32 v13, s0, s1, v15
	ds_read_b128 v[0:3], v26
	ds_read_b128 v[4:7], v8 offset:14784
	v_add_co_ci_u32_e64 v14, s0, s4, v16, s0
	v_lshl_add_u32 v25, v98, 4, v151
	global_load_dwordx4 v[13:16], v[13:14], off
	s_waitcnt lgkmcnt(0)
	v_add_f64 v[21:22], v[0:1], -v[4:5]
	v_add_f64 v[23:24], v[2:3], v[6:7]
	v_add_f64 v[2:3], v[2:3], -v[6:7]
	v_add_f64 v[0:1], v[0:1], v[4:5]
	v_mul_f64 v[6:7], v[21:22], 0.5
	v_mul_f64 v[21:22], v[23:24], 0.5
	;; [unrolled: 1-line block ×3, first 2 shown]
	s_waitcnt vmcnt(2)
	v_mul_f64 v[4:5], v[6:7], v[11:12]
	v_fma_f64 v[23:24], v[21:22], v[11:12], v[2:3]
	v_fma_f64 v[2:3], v[21:22], v[11:12], -v[2:3]
	v_fma_f64 v[11:12], v[0:1], 0.5, v[4:5]
	v_fma_f64 v[0:1], v[0:1], 0.5, -v[4:5]
	v_fma_f64 v[4:5], -v[9:10], v[6:7], v[23:24]
	v_fma_f64 v[2:3], -v[9:10], v[6:7], v[2:3]
	v_fma_f64 v[6:7], v[21:22], v[9:10], v[11:12]
	v_fma_f64 v[0:1], -v[21:22], v[9:10], v[0:1]
	v_lshlrev_b64 v[9:10], 4, v[94:95]
	ds_write2_b64 v26, v[6:7], v[4:5] offset1:1
	ds_write_b128 v8, v[0:3] offset:14784
	v_add_co_u32 v9, s0, s1, v9
	ds_read_b128 v[0:3], v152 offset:3696
	ds_read_b128 v[4:7], v8 offset:13552
	v_add_co_ci_u32_e64 v10, s0, s4, v10, s0
	global_load_dwordx4 v[9:12], v[9:10], off
	s_waitcnt lgkmcnt(0)
	v_add_f64 v[21:22], v[0:1], -v[4:5]
	v_add_f64 v[23:24], v[2:3], v[6:7]
	v_add_f64 v[2:3], v[2:3], -v[6:7]
	v_add_f64 v[0:1], v[0:1], v[4:5]
	v_mul_f64 v[6:7], v[21:22], 0.5
	v_mul_f64 v[21:22], v[23:24], 0.5
	;; [unrolled: 1-line block ×3, first 2 shown]
	s_waitcnt vmcnt(2)
	v_mul_f64 v[4:5], v[6:7], v[19:20]
	v_fma_f64 v[23:24], v[21:22], v[19:20], v[2:3]
	v_fma_f64 v[2:3], v[21:22], v[19:20], -v[2:3]
	v_fma_f64 v[19:20], v[0:1], 0.5, v[4:5]
	v_fma_f64 v[0:1], v[0:1], 0.5, -v[4:5]
	v_fma_f64 v[4:5], -v[17:18], v[6:7], v[23:24]
	v_fma_f64 v[2:3], -v[17:18], v[6:7], v[2:3]
	v_fma_f64 v[6:7], v[21:22], v[17:18], v[19:20]
	v_fma_f64 v[0:1], -v[21:22], v[17:18], v[0:1]
	v_lshlrev_b64 v[17:18], 4, v[96:97]
	v_add_nc_u32_e32 v19, 0x800, v152
	ds_write2_b64 v19, v[6:7], v[4:5] offset0:206 offset1:207
	ds_write_b128 v8, v[0:3] offset:13552
	v_add_co_u32 v17, s0, s1, v17
	ds_read_b128 v[0:3], v25
	ds_read_b128 v[4:7], v8 offset:12320
	v_add_co_ci_u32_e64 v18, s0, s4, v18, s0
	global_load_dwordx4 v[17:20], v[17:18], off
	s_waitcnt lgkmcnt(0)
	v_add_f64 v[21:22], v[0:1], -v[4:5]
	v_add_f64 v[23:24], v[2:3], v[6:7]
	v_add_f64 v[2:3], v[2:3], -v[6:7]
	v_add_f64 v[0:1], v[0:1], v[4:5]
	v_mul_f64 v[6:7], v[21:22], 0.5
	v_mul_f64 v[21:22], v[23:24], 0.5
	;; [unrolled: 1-line block ×3, first 2 shown]
	s_waitcnt vmcnt(2)
	v_mul_f64 v[4:5], v[6:7], v[15:16]
	v_fma_f64 v[23:24], v[21:22], v[15:16], v[2:3]
	v_fma_f64 v[2:3], v[21:22], v[15:16], -v[2:3]
	v_fma_f64 v[15:16], v[0:1], 0.5, v[4:5]
	v_fma_f64 v[0:1], v[0:1], 0.5, -v[4:5]
	v_fma_f64 v[4:5], -v[13:14], v[6:7], v[23:24]
	v_fma_f64 v[2:3], -v[13:14], v[6:7], v[2:3]
	v_fma_f64 v[6:7], v[21:22], v[13:14], v[15:16]
	v_fma_f64 v[0:1], -v[21:22], v[13:14], v[0:1]
	ds_write2_b64 v25, v[6:7], v[4:5] offset1:1
	ds_write_b128 v8, v[0:3] offset:12320
	ds_read_b128 v[0:3], v152 offset:6160
	ds_read_b128 v[4:7], v8 offset:11088
	s_waitcnt lgkmcnt(0)
	v_add_f64 v[13:14], v[0:1], -v[4:5]
	v_add_f64 v[15:16], v[2:3], v[6:7]
	v_add_f64 v[2:3], v[2:3], -v[6:7]
	v_add_f64 v[0:1], v[0:1], v[4:5]
	v_mul_f64 v[6:7], v[13:14], 0.5
	v_mul_f64 v[13:14], v[15:16], 0.5
	;; [unrolled: 1-line block ×3, first 2 shown]
	s_waitcnt vmcnt(1)
	v_mul_f64 v[4:5], v[6:7], v[11:12]
	v_fma_f64 v[15:16], v[13:14], v[11:12], v[2:3]
	v_fma_f64 v[2:3], v[13:14], v[11:12], -v[2:3]
	v_fma_f64 v[11:12], v[0:1], 0.5, v[4:5]
	v_fma_f64 v[0:1], v[0:1], 0.5, -v[4:5]
	v_fma_f64 v[4:5], -v[9:10], v[6:7], v[15:16]
	v_fma_f64 v[2:3], -v[9:10], v[6:7], v[2:3]
	v_lshl_add_u32 v15, v96, 4, v151
	v_fma_f64 v[6:7], v[13:14], v[9:10], v[11:12]
	v_fma_f64 v[0:1], -v[13:14], v[9:10], v[0:1]
	v_add_nc_u32_e32 v9, 0x1800, v152
	ds_write2_b64 v9, v[6:7], v[4:5] offset0:2 offset1:3
	ds_write_b128 v8, v[0:3] offset:11088
	ds_read_b128 v[0:3], v15
	ds_read_b128 v[4:7], v8 offset:9856
	s_waitcnt lgkmcnt(0)
	v_add_f64 v[9:10], v[0:1], -v[4:5]
	v_add_f64 v[11:12], v[2:3], v[6:7]
	v_add_f64 v[2:3], v[2:3], -v[6:7]
	v_add_f64 v[0:1], v[0:1], v[4:5]
	v_mul_f64 v[6:7], v[9:10], 0.5
	v_mul_f64 v[9:10], v[11:12], 0.5
	;; [unrolled: 1-line block ×3, first 2 shown]
	s_waitcnt vmcnt(0)
	v_mul_f64 v[4:5], v[6:7], v[19:20]
	v_fma_f64 v[11:12], v[9:10], v[19:20], v[2:3]
	v_fma_f64 v[2:3], v[9:10], v[19:20], -v[2:3]
	v_fma_f64 v[13:14], v[0:1], 0.5, v[4:5]
	v_fma_f64 v[0:1], v[0:1], 0.5, -v[4:5]
	v_fma_f64 v[4:5], -v[17:18], v[6:7], v[11:12]
	v_fma_f64 v[2:3], -v[17:18], v[6:7], v[2:3]
	v_fma_f64 v[6:7], v[9:10], v[17:18], v[13:14]
	v_fma_f64 v[0:1], -v[9:10], v[17:18], v[0:1]
	ds_write2_b64 v15, v[6:7], v[4:5] offset1:1
	ds_write_b128 v8, v[0:3] offset:9856
	s_waitcnt lgkmcnt(0)
	s_barrier
	buffer_gl0_inv
	s_and_saveexec_b32 s0, vcc_lo
	s_cbranch_execz .LBB0_23
; %bb.21:
	v_mul_lo_u32 v0, s3, v92
	v_mul_lo_u32 v3, s2, v93
	v_mad_u64_u32 v[1:2], null, s2, v92, 0
	v_mov_b32_e32 v91, v95
	v_lshlrev_b64 v[11:12], 4, v[88:89]
	v_add_nc_u32_e32 v94, 0x4d, v90
	v_lshlrev_b64 v[13:14], 4, v[90:91]
	v_add3_u32 v2, v2, v3, v0
	v_lshl_add_u32 v0, v90, 4, v151
	v_lshlrev_b64 v[15:16], 4, v[94:95]
	ds_read_b128 v[3:6], v0
	ds_read_b128 v[7:10], v0 offset:1232
	v_lshlrev_b64 v[1:2], 4, v[1:2]
	v_add_nc_u32_e32 v94, 0x9a, v90
	v_add_co_u32 v1, vcc_lo, s10, v1
	v_add_co_ci_u32_e32 v2, vcc_lo, s11, v2, vcc_lo
	v_add_co_u32 v1, vcc_lo, v1, v11
	v_add_co_ci_u32_e32 v2, vcc_lo, v2, v12, vcc_lo
	;; [unrolled: 2-line block ×4, first 2 shown]
	v_lshlrev_b64 v[15:16], 4, v[94:95]
	v_add_nc_u32_e32 v94, 0xe7, v90
	s_waitcnt lgkmcnt(1)
	global_store_dwordx4 v[11:12], v[3:6], off
	s_waitcnt lgkmcnt(0)
	global_store_dwordx4 v[13:14], v[7:10], off
	ds_read_b128 v[3:6], v0 offset:2464
	ds_read_b128 v[7:10], v0 offset:3696
	v_add_co_u32 v21, vcc_lo, v1, v15
	v_lshlrev_b64 v[19:20], 4, v[94:95]
	v_add_nc_u32_e32 v94, 0x134, v90
	v_add_co_ci_u32_e32 v22, vcc_lo, v2, v16, vcc_lo
	ds_read_b128 v[11:14], v0 offset:4928
	ds_read_b128 v[15:18], v0 offset:6160
	v_lshlrev_b64 v[23:24], 4, v[94:95]
	v_add_nc_u32_e32 v94, 0x181, v90
	v_add_co_u32 v19, vcc_lo, v1, v19
	v_add_co_ci_u32_e32 v20, vcc_lo, v2, v20, vcc_lo
	v_lshlrev_b64 v[25:26], 4, v[94:95]
	v_add_co_u32 v23, vcc_lo, v1, v23
	v_add_co_ci_u32_e32 v24, vcc_lo, v2, v24, vcc_lo
	v_add_nc_u32_e32 v94, 0x1ce, v90
	v_add_co_u32 v25, vcc_lo, v1, v25
	v_add_co_ci_u32_e32 v26, vcc_lo, v2, v26, vcc_lo
	v_lshlrev_b64 v[27:28], 4, v[94:95]
	v_add_nc_u32_e32 v94, 0x21b, v90
	s_waitcnt lgkmcnt(3)
	global_store_dwordx4 v[21:22], v[3:6], off
	s_waitcnt lgkmcnt(2)
	global_store_dwordx4 v[19:20], v[7:10], off
	;; [unrolled: 2-line block ×4, first 2 shown]
	ds_read_b128 v[3:6], v0 offset:7392
	ds_read_b128 v[7:10], v0 offset:8624
	;; [unrolled: 1-line block ×4, first 2 shown]
	v_lshlrev_b64 v[19:20], 4, v[94:95]
	v_add_nc_u32_e32 v94, 0x268, v90
	v_add_co_u32 v21, vcc_lo, v1, v27
	v_add_co_ci_u32_e32 v22, vcc_lo, v2, v28, vcc_lo
	v_lshlrev_b64 v[23:24], 4, v[94:95]
	v_add_nc_u32_e32 v94, 0x2b5, v90
	v_add_co_u32 v19, vcc_lo, v1, v19
	v_add_co_ci_u32_e32 v20, vcc_lo, v2, v20, vcc_lo
	v_lshlrev_b64 v[25:26], 4, v[94:95]
	v_add_nc_u32_e32 v94, 0x302, v90
	v_add_co_u32 v23, vcc_lo, v1, v23
	s_waitcnt lgkmcnt(3)
	global_store_dwordx4 v[21:22], v[3:6], off
	v_add_co_ci_u32_e32 v24, vcc_lo, v2, v24, vcc_lo
	v_lshlrev_b64 v[3:4], 4, v[94:95]
	v_add_nc_u32_e32 v94, 0x34f, v90
	v_add_co_u32 v25, vcc_lo, v1, v25
	v_add_co_ci_u32_e32 v26, vcc_lo, v2, v26, vcc_lo
	v_lshlrev_b64 v[21:22], 4, v[94:95]
	v_add_nc_u32_e32 v94, 0x39c, v90
	s_waitcnt lgkmcnt(2)
	global_store_dwordx4 v[19:20], v[7:10], off
	s_waitcnt lgkmcnt(1)
	global_store_dwordx4 v[23:24], v[11:14], off
	;; [unrolled: 2-line block ×3, first 2 shown]
	v_add_co_u32 v19, vcc_lo, v1, v3
	v_add_co_ci_u32_e32 v20, vcc_lo, v2, v4, vcc_lo
	ds_read_b128 v[3:6], v0 offset:12320
	ds_read_b128 v[7:10], v0 offset:13552
	;; [unrolled: 1-line block ×4, first 2 shown]
	v_lshlrev_b64 v[23:24], 4, v[94:95]
	v_add_nc_u32_e32 v94, 0x3e9, v90
	v_add_co_u32 v21, vcc_lo, v1, v21
	v_add_co_ci_u32_e32 v22, vcc_lo, v2, v22, vcc_lo
	v_lshlrev_b64 v[25:26], 4, v[94:95]
	v_add_co_u32 v23, vcc_lo, v1, v23
	v_add_co_ci_u32_e32 v24, vcc_lo, v2, v24, vcc_lo
	v_add_co_u32 v25, vcc_lo, v1, v25
	v_add_co_ci_u32_e32 v26, vcc_lo, v2, v26, vcc_lo
	v_cmp_eq_u32_e32 vcc_lo, 0x4c, v90
	s_waitcnt lgkmcnt(3)
	global_store_dwordx4 v[19:20], v[3:6], off
	s_waitcnt lgkmcnt(2)
	global_store_dwordx4 v[21:22], v[7:10], off
	s_waitcnt lgkmcnt(1)
	global_store_dwordx4 v[23:24], v[11:14], off
	s_waitcnt lgkmcnt(0)
	global_store_dwordx4 v[25:26], v[15:18], off
	s_and_b32 exec_lo, exec_lo, vcc_lo
	s_cbranch_execz .LBB0_23
; %bb.22:
	ds_read_b128 v[3:6], v0 offset:16032
	v_add_co_u32 v0, vcc_lo, 0x4000, v1
	v_add_co_ci_u32_e32 v1, vcc_lo, 0, v2, vcc_lo
	s_waitcnt lgkmcnt(0)
	global_store_dwordx4 v[0:1], v[3:6], off offset:864
.LBB0_23:
	s_endpgm
	.section	.rodata,"a",@progbits
	.p2align	6, 0x0
	.amdhsa_kernel fft_rtc_back_len1078_factors_2_11_7_7_wgs_231_tpt_77_halfLds_dp_op_CI_CI_unitstride_sbrr_R2C_dirReg
		.amdhsa_group_segment_fixed_size 0
		.amdhsa_private_segment_fixed_size 0
		.amdhsa_kernarg_size 104
		.amdhsa_user_sgpr_count 6
		.amdhsa_user_sgpr_private_segment_buffer 1
		.amdhsa_user_sgpr_dispatch_ptr 0
		.amdhsa_user_sgpr_queue_ptr 0
		.amdhsa_user_sgpr_kernarg_segment_ptr 1
		.amdhsa_user_sgpr_dispatch_id 0
		.amdhsa_user_sgpr_flat_scratch_init 0
		.amdhsa_user_sgpr_private_segment_size 0
		.amdhsa_wavefront_size32 1
		.amdhsa_uses_dynamic_stack 0
		.amdhsa_system_sgpr_private_segment_wavefront_offset 0
		.amdhsa_system_sgpr_workgroup_id_x 1
		.amdhsa_system_sgpr_workgroup_id_y 0
		.amdhsa_system_sgpr_workgroup_id_z 0
		.amdhsa_system_sgpr_workgroup_info 0
		.amdhsa_system_vgpr_workitem_id 0
		.amdhsa_next_free_vgpr 250
		.amdhsa_next_free_sgpr 40
		.amdhsa_reserve_vcc 1
		.amdhsa_reserve_flat_scratch 0
		.amdhsa_float_round_mode_32 0
		.amdhsa_float_round_mode_16_64 0
		.amdhsa_float_denorm_mode_32 3
		.amdhsa_float_denorm_mode_16_64 3
		.amdhsa_dx10_clamp 1
		.amdhsa_ieee_mode 1
		.amdhsa_fp16_overflow 0
		.amdhsa_workgroup_processor_mode 1
		.amdhsa_memory_ordered 1
		.amdhsa_forward_progress 0
		.amdhsa_shared_vgpr_count 0
		.amdhsa_exception_fp_ieee_invalid_op 0
		.amdhsa_exception_fp_denorm_src 0
		.amdhsa_exception_fp_ieee_div_zero 0
		.amdhsa_exception_fp_ieee_overflow 0
		.amdhsa_exception_fp_ieee_underflow 0
		.amdhsa_exception_fp_ieee_inexact 0
		.amdhsa_exception_int_div_zero 0
	.end_amdhsa_kernel
	.text
.Lfunc_end0:
	.size	fft_rtc_back_len1078_factors_2_11_7_7_wgs_231_tpt_77_halfLds_dp_op_CI_CI_unitstride_sbrr_R2C_dirReg, .Lfunc_end0-fft_rtc_back_len1078_factors_2_11_7_7_wgs_231_tpt_77_halfLds_dp_op_CI_CI_unitstride_sbrr_R2C_dirReg
                                        ; -- End function
	.section	.AMDGPU.csdata,"",@progbits
; Kernel info:
; codeLenInByte = 15820
; NumSgprs: 42
; NumVgprs: 250
; ScratchSize: 0
; MemoryBound: 0
; FloatMode: 240
; IeeeMode: 1
; LDSByteSize: 0 bytes/workgroup (compile time only)
; SGPRBlocks: 5
; VGPRBlocks: 31
; NumSGPRsForWavesPerEU: 42
; NumVGPRsForWavesPerEU: 250
; Occupancy: 4
; WaveLimiterHint : 1
; COMPUTE_PGM_RSRC2:SCRATCH_EN: 0
; COMPUTE_PGM_RSRC2:USER_SGPR: 6
; COMPUTE_PGM_RSRC2:TRAP_HANDLER: 0
; COMPUTE_PGM_RSRC2:TGID_X_EN: 1
; COMPUTE_PGM_RSRC2:TGID_Y_EN: 0
; COMPUTE_PGM_RSRC2:TGID_Z_EN: 0
; COMPUTE_PGM_RSRC2:TIDIG_COMP_CNT: 0
	.text
	.p2alignl 6, 3214868480
	.fill 48, 4, 3214868480
	.type	__hip_cuid_269d4bed31f6b814,@object ; @__hip_cuid_269d4bed31f6b814
	.section	.bss,"aw",@nobits
	.globl	__hip_cuid_269d4bed31f6b814
__hip_cuid_269d4bed31f6b814:
	.byte	0                               ; 0x0
	.size	__hip_cuid_269d4bed31f6b814, 1

	.ident	"AMD clang version 19.0.0git (https://github.com/RadeonOpenCompute/llvm-project roc-6.4.0 25133 c7fe45cf4b819c5991fe208aaa96edf142730f1d)"
	.section	".note.GNU-stack","",@progbits
	.addrsig
	.addrsig_sym __hip_cuid_269d4bed31f6b814
	.amdgpu_metadata
---
amdhsa.kernels:
  - .args:
      - .actual_access:  read_only
        .address_space:  global
        .offset:         0
        .size:           8
        .value_kind:     global_buffer
      - .offset:         8
        .size:           8
        .value_kind:     by_value
      - .actual_access:  read_only
        .address_space:  global
        .offset:         16
        .size:           8
        .value_kind:     global_buffer
      - .actual_access:  read_only
        .address_space:  global
        .offset:         24
        .size:           8
        .value_kind:     global_buffer
      - .actual_access:  read_only
        .address_space:  global
        .offset:         32
        .size:           8
        .value_kind:     global_buffer
      - .offset:         40
        .size:           8
        .value_kind:     by_value
      - .actual_access:  read_only
        .address_space:  global
        .offset:         48
        .size:           8
        .value_kind:     global_buffer
      - .actual_access:  read_only
        .address_space:  global
        .offset:         56
        .size:           8
        .value_kind:     global_buffer
      - .offset:         64
        .size:           4
        .value_kind:     by_value
      - .actual_access:  read_only
        .address_space:  global
        .offset:         72
        .size:           8
        .value_kind:     global_buffer
      - .actual_access:  read_only
        .address_space:  global
        .offset:         80
        .size:           8
        .value_kind:     global_buffer
      - .actual_access:  read_only
        .address_space:  global
        .offset:         88
        .size:           8
        .value_kind:     global_buffer
      - .actual_access:  write_only
        .address_space:  global
        .offset:         96
        .size:           8
        .value_kind:     global_buffer
    .group_segment_fixed_size: 0
    .kernarg_segment_align: 8
    .kernarg_segment_size: 104
    .language:       OpenCL C
    .language_version:
      - 2
      - 0
    .max_flat_workgroup_size: 231
    .name:           fft_rtc_back_len1078_factors_2_11_7_7_wgs_231_tpt_77_halfLds_dp_op_CI_CI_unitstride_sbrr_R2C_dirReg
    .private_segment_fixed_size: 0
    .sgpr_count:     42
    .sgpr_spill_count: 0
    .symbol:         fft_rtc_back_len1078_factors_2_11_7_7_wgs_231_tpt_77_halfLds_dp_op_CI_CI_unitstride_sbrr_R2C_dirReg.kd
    .uniform_work_group_size: 1
    .uses_dynamic_stack: false
    .vgpr_count:     250
    .vgpr_spill_count: 0
    .wavefront_size: 32
    .workgroup_processor_mode: 1
amdhsa.target:   amdgcn-amd-amdhsa--gfx1030
amdhsa.version:
  - 1
  - 2
...

	.end_amdgpu_metadata
